;; amdgpu-corpus repo=ROCm/rocFFT kind=compiled arch=gfx1030 opt=O3
	.text
	.amdgcn_target "amdgcn-amd-amdhsa--gfx1030"
	.amdhsa_code_object_version 6
	.protected	fft_rtc_back_len1920_factors_10_6_16_2_wgs_240_tpt_120_halfLds_dp_op_CI_CI_sbrr_dirReg ; -- Begin function fft_rtc_back_len1920_factors_10_6_16_2_wgs_240_tpt_120_halfLds_dp_op_CI_CI_sbrr_dirReg
	.globl	fft_rtc_back_len1920_factors_10_6_16_2_wgs_240_tpt_120_halfLds_dp_op_CI_CI_sbrr_dirReg
	.p2align	8
	.type	fft_rtc_back_len1920_factors_10_6_16_2_wgs_240_tpt_120_halfLds_dp_op_CI_CI_sbrr_dirReg,@function
fft_rtc_back_len1920_factors_10_6_16_2_wgs_240_tpt_120_halfLds_dp_op_CI_CI_sbrr_dirReg: ; @fft_rtc_back_len1920_factors_10_6_16_2_wgs_240_tpt_120_halfLds_dp_op_CI_CI_sbrr_dirReg
; %bb.0:
	s_clause 0x2
	s_load_dwordx4 s[16:19], s[4:5], 0x18
	s_load_dwordx4 s[12:15], s[4:5], 0x0
	;; [unrolled: 1-line block ×3, first 2 shown]
	v_mul_u32_u24_e32 v1, 0x223, v0
	v_mov_b32_e32 v4, 0
	v_mov_b32_e32 v5, 0
	s_waitcnt lgkmcnt(0)
	s_load_dwordx2 s[20:21], s[16:17], 0x0
	s_load_dwordx2 s[2:3], s[18:19], 0x0
	v_lshrrev_b32_e32 v80, 16, v1
	v_mov_b32_e32 v1, 0
	v_cmp_lt_u64_e64 s0, s[14:15], 2
	v_lshl_add_u32 v6, s6, 1, v80
	v_mov_b32_e32 v7, v1
	s_and_b32 vcc_lo, exec_lo, s0
	s_cbranch_vccnz .LBB0_8
; %bb.1:
	s_load_dwordx2 s[0:1], s[4:5], 0x10
	v_mov_b32_e32 v4, 0
	v_mov_b32_e32 v5, 0
	s_add_u32 s6, s18, 8
	s_addc_u32 s7, s19, 0
	s_add_u32 s22, s16, 8
	s_addc_u32 s23, s17, 0
	v_mov_b32_e32 v113, v5
	v_mov_b32_e32 v112, v4
	s_mov_b64 s[26:27], 1
	s_waitcnt lgkmcnt(0)
	s_add_u32 s24, s0, 8
	s_addc_u32 s25, s1, 0
.LBB0_2:                                ; =>This Inner Loop Header: Depth=1
	s_load_dwordx2 s[28:29], s[24:25], 0x0
                                        ; implicit-def: $vgpr116_vgpr117
	s_mov_b32 s0, exec_lo
	s_waitcnt lgkmcnt(0)
	v_or_b32_e32 v2, s29, v7
	v_cmpx_ne_u64_e32 0, v[1:2]
	s_xor_b32 s1, exec_lo, s0
	s_cbranch_execz .LBB0_4
; %bb.3:                                ;   in Loop: Header=BB0_2 Depth=1
	v_cvt_f32_u32_e32 v2, s28
	v_cvt_f32_u32_e32 v3, s29
	s_sub_u32 s0, 0, s28
	s_subb_u32 s30, 0, s29
	v_fmac_f32_e32 v2, 0x4f800000, v3
	v_rcp_f32_e32 v2, v2
	v_mul_f32_e32 v2, 0x5f7ffffc, v2
	v_mul_f32_e32 v3, 0x2f800000, v2
	v_trunc_f32_e32 v3, v3
	v_fmac_f32_e32 v2, 0xcf800000, v3
	v_cvt_u32_f32_e32 v3, v3
	v_cvt_u32_f32_e32 v2, v2
	v_mul_lo_u32 v8, s0, v3
	v_mul_hi_u32 v9, s0, v2
	v_mul_lo_u32 v10, s30, v2
	v_add_nc_u32_e32 v8, v9, v8
	v_mul_lo_u32 v9, s0, v2
	v_add_nc_u32_e32 v8, v8, v10
	v_mul_hi_u32 v10, v2, v9
	v_mul_lo_u32 v11, v2, v8
	v_mul_hi_u32 v12, v2, v8
	v_mul_hi_u32 v13, v3, v9
	v_mul_lo_u32 v9, v3, v9
	v_mul_hi_u32 v14, v3, v8
	v_mul_lo_u32 v8, v3, v8
	v_add_co_u32 v10, vcc_lo, v10, v11
	v_add_co_ci_u32_e32 v11, vcc_lo, 0, v12, vcc_lo
	v_add_co_u32 v9, vcc_lo, v10, v9
	v_add_co_ci_u32_e32 v9, vcc_lo, v11, v13, vcc_lo
	v_add_co_ci_u32_e32 v10, vcc_lo, 0, v14, vcc_lo
	v_add_co_u32 v8, vcc_lo, v9, v8
	v_add_co_ci_u32_e32 v9, vcc_lo, 0, v10, vcc_lo
	v_add_co_u32 v2, vcc_lo, v2, v8
	v_add_co_ci_u32_e32 v3, vcc_lo, v3, v9, vcc_lo
	v_mul_hi_u32 v8, s0, v2
	v_mul_lo_u32 v10, s30, v2
	v_mul_lo_u32 v9, s0, v3
	v_add_nc_u32_e32 v8, v8, v9
	v_mul_lo_u32 v9, s0, v2
	v_add_nc_u32_e32 v8, v8, v10
	v_mul_hi_u32 v10, v2, v9
	v_mul_lo_u32 v11, v2, v8
	v_mul_hi_u32 v12, v2, v8
	v_mul_hi_u32 v13, v3, v9
	v_mul_lo_u32 v9, v3, v9
	v_mul_hi_u32 v14, v3, v8
	v_mul_lo_u32 v8, v3, v8
	v_add_co_u32 v10, vcc_lo, v10, v11
	v_add_co_ci_u32_e32 v11, vcc_lo, 0, v12, vcc_lo
	v_add_co_u32 v9, vcc_lo, v10, v9
	v_add_co_ci_u32_e32 v9, vcc_lo, v11, v13, vcc_lo
	v_add_co_ci_u32_e32 v10, vcc_lo, 0, v14, vcc_lo
	v_add_co_u32 v8, vcc_lo, v9, v8
	v_add_co_ci_u32_e32 v9, vcc_lo, 0, v10, vcc_lo
	v_add_co_u32 v8, vcc_lo, v2, v8
	v_add_co_ci_u32_e32 v10, vcc_lo, v3, v9, vcc_lo
	v_mul_hi_u32 v12, v6, v8
	v_mad_u64_u32 v[8:9], null, v7, v8, 0
	v_mad_u64_u32 v[2:3], null, v6, v10, 0
	;; [unrolled: 1-line block ×3, first 2 shown]
	v_add_co_u32 v2, vcc_lo, v12, v2
	v_add_co_ci_u32_e32 v3, vcc_lo, 0, v3, vcc_lo
	v_add_co_u32 v2, vcc_lo, v2, v8
	v_add_co_ci_u32_e32 v2, vcc_lo, v3, v9, vcc_lo
	v_add_co_ci_u32_e32 v3, vcc_lo, 0, v11, vcc_lo
	v_add_co_u32 v8, vcc_lo, v2, v10
	v_add_co_ci_u32_e32 v9, vcc_lo, 0, v3, vcc_lo
	v_mul_lo_u32 v10, s29, v8
	v_mad_u64_u32 v[2:3], null, s28, v8, 0
	v_mul_lo_u32 v11, s28, v9
	v_sub_co_u32 v2, vcc_lo, v6, v2
	v_add3_u32 v3, v3, v11, v10
	v_sub_nc_u32_e32 v10, v7, v3
	v_subrev_co_ci_u32_e64 v10, s0, s29, v10, vcc_lo
	v_add_co_u32 v11, s0, v8, 2
	v_add_co_ci_u32_e64 v12, s0, 0, v9, s0
	v_sub_co_u32 v13, s0, v2, s28
	v_sub_co_ci_u32_e32 v3, vcc_lo, v7, v3, vcc_lo
	v_subrev_co_ci_u32_e64 v10, s0, 0, v10, s0
	v_cmp_le_u32_e32 vcc_lo, s28, v13
	v_cmp_eq_u32_e64 s0, s29, v3
	v_cndmask_b32_e64 v13, 0, -1, vcc_lo
	v_cmp_le_u32_e32 vcc_lo, s29, v10
	v_cndmask_b32_e64 v14, 0, -1, vcc_lo
	v_cmp_le_u32_e32 vcc_lo, s28, v2
	v_cndmask_b32_e64 v2, 0, -1, vcc_lo
	v_cmp_le_u32_e32 vcc_lo, s29, v3
	v_cndmask_b32_e64 v15, 0, -1, vcc_lo
	v_cmp_eq_u32_e32 vcc_lo, s29, v10
	v_cndmask_b32_e64 v2, v15, v2, s0
	v_cndmask_b32_e32 v10, v14, v13, vcc_lo
	v_add_co_u32 v13, vcc_lo, v8, 1
	v_add_co_ci_u32_e32 v14, vcc_lo, 0, v9, vcc_lo
	v_cmp_ne_u32_e32 vcc_lo, 0, v10
	v_cndmask_b32_e32 v3, v14, v12, vcc_lo
	v_cndmask_b32_e32 v10, v13, v11, vcc_lo
	v_cmp_ne_u32_e32 vcc_lo, 0, v2
	v_cndmask_b32_e32 v117, v9, v3, vcc_lo
	v_cndmask_b32_e32 v116, v8, v10, vcc_lo
.LBB0_4:                                ;   in Loop: Header=BB0_2 Depth=1
	s_andn2_saveexec_b32 s0, s1
	s_cbranch_execz .LBB0_6
; %bb.5:                                ;   in Loop: Header=BB0_2 Depth=1
	v_cvt_f32_u32_e32 v2, s28
	s_sub_i32 s1, 0, s28
	v_mov_b32_e32 v117, v1
	v_rcp_iflag_f32_e32 v2, v2
	v_mul_f32_e32 v2, 0x4f7ffffe, v2
	v_cvt_u32_f32_e32 v2, v2
	v_mul_lo_u32 v3, s1, v2
	v_mul_hi_u32 v3, v2, v3
	v_add_nc_u32_e32 v2, v2, v3
	v_mul_hi_u32 v2, v6, v2
	v_mul_lo_u32 v3, v2, s28
	v_add_nc_u32_e32 v8, 1, v2
	v_sub_nc_u32_e32 v3, v6, v3
	v_subrev_nc_u32_e32 v9, s28, v3
	v_cmp_le_u32_e32 vcc_lo, s28, v3
	v_cndmask_b32_e32 v3, v3, v9, vcc_lo
	v_cndmask_b32_e32 v2, v2, v8, vcc_lo
	v_cmp_le_u32_e32 vcc_lo, s28, v3
	v_add_nc_u32_e32 v8, 1, v2
	v_cndmask_b32_e32 v116, v2, v8, vcc_lo
.LBB0_6:                                ;   in Loop: Header=BB0_2 Depth=1
	s_or_b32 exec_lo, exec_lo, s0
	v_mul_lo_u32 v8, v117, s28
	v_mul_lo_u32 v9, v116, s29
	s_load_dwordx2 s[0:1], s[22:23], 0x0
	v_mad_u64_u32 v[2:3], null, v116, s28, 0
	s_load_dwordx2 s[28:29], s[6:7], 0x0
	s_add_u32 s26, s26, 1
	s_addc_u32 s27, s27, 0
	s_add_u32 s6, s6, 8
	s_addc_u32 s7, s7, 0
	s_add_u32 s22, s22, 8
	v_add3_u32 v3, v3, v9, v8
	v_sub_co_u32 v2, vcc_lo, v6, v2
	s_addc_u32 s23, s23, 0
	s_add_u32 s24, s24, 8
	v_sub_co_ci_u32_e32 v3, vcc_lo, v7, v3, vcc_lo
	s_addc_u32 s25, s25, 0
	s_waitcnt lgkmcnt(0)
	v_mul_lo_u32 v6, s0, v3
	v_mul_lo_u32 v7, s1, v2
	v_mad_u64_u32 v[4:5], null, s0, v2, v[4:5]
	v_mul_lo_u32 v3, s28, v3
	v_mul_lo_u32 v8, s29, v2
	v_mad_u64_u32 v[112:113], null, s28, v2, v[112:113]
	v_cmp_ge_u64_e64 s0, s[26:27], s[14:15]
	v_add3_u32 v5, v7, v5, v6
	v_add3_u32 v113, v8, v113, v3
	s_and_b32 vcc_lo, exec_lo, s0
	s_cbranch_vccnz .LBB0_9
; %bb.7:                                ;   in Loop: Header=BB0_2 Depth=1
	v_mov_b32_e32 v6, v116
	v_mov_b32_e32 v7, v117
	s_branch .LBB0_2
.LBB0_8:
	v_mov_b32_e32 v113, v5
	v_mov_b32_e32 v117, v7
	;; [unrolled: 1-line block ×4, first 2 shown]
.LBB0_9:
	s_load_dwordx2 s[0:1], s[4:5], 0x28
	v_mul_hi_u32 v1, 0x2222223, v0
	s_lshl_b64 s[6:7], s[14:15], 3
                                        ; implicit-def: $vgpr114
	s_add_u32 s4, s18, s6
	s_addc_u32 s5, s19, s7
	s_waitcnt lgkmcnt(0)
	v_cmp_gt_u64_e32 vcc_lo, s[0:1], v[116:117]
	v_cmp_le_u64_e64 s0, s[0:1], v[116:117]
	s_and_saveexec_b32 s1, s0
	s_xor_b32 s0, exec_lo, s1
; %bb.10:
	v_mul_u32_u24_e32 v1, 0x78, v1
                                        ; implicit-def: $vgpr4_vgpr5
	v_sub_nc_u32_e32 v114, v0, v1
                                        ; implicit-def: $vgpr1
                                        ; implicit-def: $vgpr0
; %bb.11:
	s_or_saveexec_b32 s1, s0
	s_load_dwordx2 s[4:5], s[4:5], 0x0
                                        ; implicit-def: $vgpr2_vgpr3
                                        ; implicit-def: $vgpr10_vgpr11
                                        ; implicit-def: $vgpr18_vgpr19
                                        ; implicit-def: $vgpr34_vgpr35
                                        ; implicit-def: $vgpr38_vgpr39
                                        ; implicit-def: $vgpr26_vgpr27
                                        ; implicit-def: $vgpr14_vgpr15
                                        ; implicit-def: $vgpr42_vgpr43
                                        ; implicit-def: $vgpr46_vgpr47
                                        ; implicit-def: $vgpr50_vgpr51
                                        ; implicit-def: $vgpr54_vgpr55
                                        ; implicit-def: $vgpr78_vgpr79
                                        ; implicit-def: $vgpr62_vgpr63
                                        ; implicit-def: $vgpr58_vgpr59
                                        ; implicit-def: $vgpr70_vgpr71
                                        ; implicit-def: $vgpr66_vgpr67
                                        ; implicit-def: $vgpr74_vgpr75
                                        ; implicit-def: $vgpr22_vgpr23
                                        ; implicit-def: $vgpr30_vgpr31
                                        ; implicit-def: $vgpr6_vgpr7
	s_xor_b32 exec_lo, exec_lo, s1
	s_cbranch_execz .LBB0_15
; %bb.12:
	s_add_u32 s6, s16, s6
	s_addc_u32 s7, s17, s7
	v_mul_u32_u24_e32 v1, 0x78, v1
	s_load_dwordx2 s[6:7], s[6:7], 0x0
	v_lshlrev_b64 v[4:5], 4, v[4:5]
                                        ; implicit-def: $vgpr72_vgpr73
                                        ; implicit-def: $vgpr64_vgpr65
                                        ; implicit-def: $vgpr68_vgpr69
                                        ; implicit-def: $vgpr56_vgpr57
                                        ; implicit-def: $vgpr60_vgpr61
                                        ; implicit-def: $vgpr76_vgpr77
                                        ; implicit-def: $vgpr52_vgpr53
                                        ; implicit-def: $vgpr48_vgpr49
                                        ; implicit-def: $vgpr44_vgpr45
	v_sub_nc_u32_e32 v114, v0, v1
	v_add_nc_u32_e32 v14, 0xc0, v114
	v_or_b32_e32 v15, 0x180, v114
	v_mad_u64_u32 v[0:1], null, s20, v114, 0
	v_add_nc_u32_e32 v16, 0x240, v114
	v_mad_u64_u32 v[2:3], null, s20, v14, 0
	v_mad_u64_u32 v[6:7], null, s20, v15, 0
	;; [unrolled: 1-line block ×3, first 2 shown]
	s_waitcnt lgkmcnt(0)
	v_mul_lo_u32 v17, s7, v116
	v_mul_lo_u32 v18, s6, v117
	v_mad_u64_u32 v[10:11], null, s6, v116, 0
	v_mad_u64_u32 v[12:13], null, s21, v114, v[1:2]
	v_mov_b32_e32 v1, v3
	v_mov_b32_e32 v3, v7
	;; [unrolled: 1-line block ×3, first 2 shown]
	v_or_b32_e32 v19, 0x300, v114
	v_add3_u32 v11, v11, v18, v17
	v_mad_u64_u32 v[13:14], null, s21, v14, v[1:2]
	v_mad_u64_u32 v[14:15], null, s21, v15, v[3:4]
	v_lshlrev_b64 v[9:10], 4, v[10:11]
	v_mov_b32_e32 v1, v12
	v_mad_u64_u32 v[11:12], null, s21, v16, v[7:8]
	v_mov_b32_e32 v3, v13
	v_add_nc_u32_e32 v18, 0x3c0, v114
	v_add_co_u32 v9, s0, s8, v9
	v_add_co_ci_u32_e64 v10, s0, s9, v10, s0
	v_lshlrev_b64 v[0:1], 4, v[0:1]
	v_mov_b32_e32 v7, v14
	v_add_co_u32 v58, s0, v9, v4
	v_add_co_ci_u32_e64 v59, s0, v10, v5, s0
	v_lshlrev_b64 v[2:3], 4, v[2:3]
	v_mad_u64_u32 v[14:15], null, s20, v19, 0
	v_add_co_u32 v0, s0, v58, v0
	v_lshlrev_b64 v[12:13], 4, v[6:7]
	v_add_co_ci_u32_e64 v1, s0, v59, v1, s0
	v_add_co_u32 v2, s0, v58, v2
	v_add_co_ci_u32_e64 v3, s0, v59, v3, s0
	v_mov_b32_e32 v9, v11
	v_add_co_u32 v10, s0, v58, v12
	v_mov_b32_e32 v12, v15
	v_mad_u64_u32 v[20:21], null, s20, v18, 0
	v_lshlrev_b64 v[8:9], 4, v[8:9]
	v_add_co_ci_u32_e64 v11, s0, v59, v13, s0
	v_mad_u64_u32 v[12:13], null, s21, v19, v[12:13]
	v_or_b32_e32 v26, 0x480, v114
	v_add_co_u32 v16, s0, v58, v8
	v_mov_b32_e32 v8, v21
	v_add_nc_u32_e32 v27, 0x540, v114
	v_mad_u64_u32 v[22:23], null, s20, v26, 0
	v_mov_b32_e32 v15, v12
	v_mad_u64_u32 v[24:25], null, s21, v18, v[8:9]
	v_mad_u64_u32 v[12:13], null, s20, v27, 0
	v_lshlrev_b64 v[14:15], 4, v[14:15]
	v_or_b32_e32 v29, 0x600, v114
	v_add_nc_u32_e32 v30, 0x6c0, v114
	v_add_co_ci_u32_e64 v17, s0, v59, v9, s0
	v_mov_b32_e32 v21, v24
	v_mad_u64_u32 v[23:24], null, s21, v26, v[23:24]
	v_mad_u64_u32 v[24:25], null, s20, v29, 0
	;; [unrolled: 1-line block ×4, first 2 shown]
	v_lshlrev_b64 v[20:21], 4, v[20:21]
	v_add_co_u32 v14, s0, v58, v14
	v_lshlrev_b64 v[22:23], 4, v[22:23]
	v_mov_b32_e32 v13, v26
	v_mad_u64_u32 v[25:26], null, s21, v29, v[25:26]
	v_mov_b32_e32 v26, v28
	v_add_co_ci_u32_e64 v15, s0, v59, v15, s0
	v_add_co_u32 v20, s0, v58, v20
	v_mad_u64_u32 v[28:29], null, s21, v30, v[26:27]
	v_lshlrev_b64 v[12:13], 4, v[12:13]
	v_add_co_ci_u32_e64 v21, s0, v59, v21, s0
	v_add_co_u32 v22, s0, v58, v22
	v_lshlrev_b64 v[24:25], 4, v[24:25]
	v_add_co_ci_u32_e64 v23, s0, v59, v23, s0
	v_add_co_u32 v12, s0, v58, v12
	;; [unrolled: 3-line block ×3, first 2 shown]
	v_add_co_ci_u32_e64 v41, s0, v59, v25, s0
	v_add_co_u32 v42, s0, v58, v26
	s_clause 0x3
	global_load_dwordx4 v[4:7], v[0:1], off
	global_load_dwordx4 v[0:3], v[2:3], off
	;; [unrolled: 1-line block ×4, first 2 shown]
	v_add_co_ci_u32_e64 v43, s0, v59, v27, s0
	s_clause 0x5
	global_load_dwordx4 v[32:35], v[14:15], off
	global_load_dwordx4 v[36:39], v[20:21], off
	;; [unrolled: 1-line block ×6, first 2 shown]
	s_mov_b32 s6, exec_lo
                                        ; implicit-def: $vgpr40_vgpr41
	v_cmpx_gt_u32_e32 0x48, v114
	s_cbranch_execz .LBB0_14
; %bb.13:
	v_add_nc_u32_e32 v46, 0x78, v114
	v_add_nc_u32_e32 v50, 0x138, v114
	;; [unrolled: 1-line block ×5, first 2 shown]
	v_mad_u64_u32 v[40:41], null, s20, v46, 0
	v_mad_u64_u32 v[42:43], null, s20, v50, 0
	;; [unrolled: 1-line block ×6, first 2 shown]
	v_mov_b32_e32 v41, v45
	v_mad_u64_u32 v[50:51], null, s21, v50, v[43:44]
	v_mov_b32_e32 v45, v49
	v_add_nc_u32_e32 v55, 0x438, v114
	v_mad_u64_u32 v[51:52], null, s21, v52, v[41:42]
	v_mov_b32_e32 v41, v46
	v_mov_b32_e32 v52, v57
	;; [unrolled: 1-line block ×3, first 2 shown]
	v_mad_u64_u32 v[49:50], null, s21, v53, v[45:46]
	v_lshlrev_b64 v[40:41], 4, v[40:41]
	v_mov_b32_e32 v45, v51
	v_lshlrev_b64 v[42:43], 4, v[42:43]
	v_mad_u64_u32 v[60:61], null, s20, v55, 0
	v_mad_u64_u32 v[52:53], null, s21, v54, v[52:53]
	v_add_co_u32 v40, s0, v58, v40
	v_lshlrev_b64 v[50:51], 4, v[44:45]
	v_add_co_ci_u32_e64 v41, s0, v59, v41, s0
	v_add_co_u32 v46, s0, v58, v42
	v_lshlrev_b64 v[48:49], 4, v[48:49]
	v_add_co_ci_u32_e64 v47, s0, v59, v43, s0
	v_add_co_u32 v50, s0, v58, v50
	v_add_co_ci_u32_e64 v51, s0, v59, v51, s0
	v_add_nc_u32_e32 v67, 0x4f8, v114
	v_add_co_u32 v53, s0, v58, v48
	v_mov_b32_e32 v48, v61
	v_add_nc_u32_e32 v69, 0x5b8, v114
	v_mad_u64_u32 v[62:63], null, s20, v67, 0
	v_add_nc_u32_e32 v72, 0x678, v114
	v_mad_u64_u32 v[64:65], null, s21, v55, v[48:49]
	v_mad_u64_u32 v[65:66], null, s20, v69, 0
	v_add_nc_u32_e32 v73, 0x738, v114
	v_mov_b32_e32 v57, v52
	v_add_co_ci_u32_e64 v54, s0, v59, v49, s0
	v_mov_b32_e32 v61, v64
	v_mad_u64_u32 v[63:64], null, s21, v67, v[63:64]
	v_mov_b32_e32 v64, v66
	v_mad_u64_u32 v[67:68], null, s20, v72, 0
	v_lshlrev_b64 v[56:57], 4, v[56:57]
	v_lshlrev_b64 v[60:61], 4, v[60:61]
	v_mad_u64_u32 v[69:70], null, s21, v69, v[64:65]
	v_mad_u64_u32 v[70:71], null, s20, v73, 0
	v_mov_b32_e32 v64, v68
	v_add_co_u32 v56, s0, v58, v56
	v_lshlrev_b64 v[62:63], 4, v[62:63]
	v_mov_b32_e32 v66, v69
	v_mad_u64_u32 v[68:69], null, s21, v72, v[64:65]
	v_mov_b32_e32 v64, v71
	v_add_co_ci_u32_e64 v57, s0, v59, v57, s0
	v_add_co_u32 v60, s0, v58, v60
	v_mad_u64_u32 v[71:72], null, s21, v73, v[64:65]
	v_lshlrev_b64 v[64:65], 4, v[65:66]
	v_add_co_ci_u32_e64 v61, s0, v59, v61, s0
	v_add_co_u32 v62, s0, v58, v62
	v_add_co_ci_u32_e64 v63, s0, v59, v63, s0
	v_lshlrev_b64 v[66:67], 4, v[67:68]
	v_add_co_u32 v68, s0, v58, v64
	v_add_co_ci_u32_e64 v69, s0, v59, v65, s0
	v_lshlrev_b64 v[64:65], 4, v[70:71]
	v_add_co_u32 v81, s0, v58, v66
	v_add_co_ci_u32_e64 v82, s0, v59, v67, s0
	s_clause 0x1
	global_load_dwordx4 v[40:43], v[40:41], off
	global_load_dwordx4 v[44:47], v[46:47], off
	v_add_co_u32 v83, s0, v58, v64
	s_clause 0x1
	global_load_dwordx4 v[48:51], v[50:51], off
	global_load_dwordx4 v[52:55], v[53:54], off
	v_add_co_ci_u32_e64 v84, s0, v59, v65, s0
	s_clause 0x5
	global_load_dwordx4 v[76:79], v[56:57], off
	global_load_dwordx4 v[72:75], v[60:61], off
	;; [unrolled: 1-line block ×6, first 2 shown]
.LBB0_14:
	s_or_b32 exec_lo, exec_lo, s6
.LBB0_15:
	s_or_b32 exec_lo, exec_lo, s1
	s_waitcnt vmcnt(2)
	v_add_f64 v[81:82], v[38:39], v[26:27]
	s_waitcnt vmcnt(0)
	v_add_f64 v[83:84], v[18:19], v[22:23]
	v_add_f64 v[85:86], v[36:37], v[24:25]
	v_add_f64 v[87:88], v[16:17], -v[20:21]
	s_mov_b32 s6, 0x134454ff
	s_mov_b32 s7, 0xbfee6f0e
	;; [unrolled: 1-line block ×4, first 2 shown]
	v_add_f64 v[89:90], v[18:19], -v[38:39]
	v_add_f64 v[91:92], v[22:23], -v[26:27]
	v_add_f64 v[93:94], v[16:17], v[20:21]
	v_add_f64 v[95:96], v[36:37], -v[24:25]
	v_add_f64 v[97:98], v[32:33], v[28:29]
	v_add_f64 v[99:100], v[18:19], -v[22:23]
	s_mov_b32 s8, 0x4755a5e
	s_mov_b32 s9, 0xbfe2cf23
	;; [unrolled: 1-line block ×4, first 2 shown]
	v_add_f64 v[103:104], v[16:17], -v[36:37]
	v_add_f64 v[105:106], v[20:21], -v[24:25]
	;; [unrolled: 1-line block ×4, first 2 shown]
	v_fma_f64 v[81:82], v[81:82], -0.5, v[2:3]
	v_fma_f64 v[83:84], v[83:84], -0.5, v[2:3]
	;; [unrolled: 1-line block ×3, first 2 shown]
	v_add_f64 v[118:119], v[8:9], v[12:13]
	v_add_f64 v[122:123], v[10:11], -v[14:15]
	v_add_f64 v[120:121], v[38:39], -v[26:27]
	v_add_f64 v[124:125], v[8:9], v[4:5]
	s_mov_b32 s18, 0x372fe950
	s_mov_b32 s19, 0x3fd3c6ef
	v_add_f64 v[89:90], v[89:90], v[91:92]
	v_fma_f64 v[93:94], v[93:94], -0.5, v[0:1]
	v_add_f64 v[0:1], v[0:1], v[16:17]
	v_fma_f64 v[91:92], v[97:98], -0.5, v[4:5]
	v_add_f64 v[128:129], v[8:9], -v[32:33]
	v_add_f64 v[130:131], v[12:13], -v[28:29]
	;; [unrolled: 1-line block ×5, first 2 shown]
	s_mov_b32 s20, 0x9b97f4a8
	v_add_f64 v[103:104], v[103:104], v[105:106]
	s_mov_b32 s21, 0x3fe9e377
	v_add_f64 v[105:106], v[107:108], v[109:110]
	v_fma_f64 v[101:102], v[87:88], s[16:17], v[81:82]
	v_fma_f64 v[126:127], v[95:96], s[6:7], v[83:84]
	;; [unrolled: 1-line block ×5, first 2 shown]
	v_fma_f64 v[4:5], v[118:119], -0.5, v[4:5]
	v_fma_f64 v[85:86], v[99:100], s[16:17], v[85:86]
	s_mov_b32 s23, 0xbfd3c6ef
	s_mov_b32 s25, 0xbfe9e377
	;; [unrolled: 1-line block ×3, first 2 shown]
	v_fma_f64 v[107:108], v[120:121], s[16:17], v[93:94]
	v_fma_f64 v[93:94], v[120:121], s[6:7], v[93:94]
	v_add_f64 v[36:37], v[0:1], v[36:37]
	s_mov_b32 s24, s20
	v_add_f64 v[140:141], v[68:69], -v[60:61]
	v_add_f64 v[142:143], v[54:55], -v[74:75]
	v_add_f64 v[144:145], v[76:77], v[64:65]
	v_add_f64 v[146:147], v[78:79], -v[66:67]
	v_add_f64 v[150:151], v[54:55], v[62:63]
	v_add_f64 v[138:139], v[52:53], -v[72:73]
	v_add_f64 v[152:153], v[52:53], -v[60:61]
	v_cmp_gt_u32_e64 s1, 0x48, v114
	v_fma_f64 v[101:102], v[95:96], s[14:15], v[101:102]
	v_fma_f64 v[109:110], v[87:88], s[14:15], v[126:127]
	;; [unrolled: 1-line block ×4, first 2 shown]
	v_add_f64 v[87:88], v[32:33], v[124:125]
	v_fma_f64 v[95:96], v[122:123], s[6:7], v[91:92]
	v_fma_f64 v[97:98], v[120:121], s[8:9], v[97:98]
	v_add_f64 v[124:125], v[28:29], -v[12:13]
	v_add_f64 v[126:127], v[128:129], v[130:131]
	v_add_f64 v[128:129], v[132:133], v[134:135]
	v_fma_f64 v[91:92], v[122:123], s[16:17], v[91:92]
	v_fma_f64 v[130:131], v[136:137], s[16:17], v[4:5]
	;; [unrolled: 1-line block ×6, first 2 shown]
	v_add_f64 v[36:37], v[36:37], v[24:25]
	v_fma_f64 v[16:17], v[89:90], s[18:19], v[101:102]
	v_add_f64 v[101:102], v[32:33], -v[8:9]
	v_fma_f64 v[0:1], v[105:106], s[18:19], v[109:110]
	v_fma_f64 v[120:121], v[105:106], s[18:19], v[83:84]
	;; [unrolled: 1-line block ×3, first 2 shown]
	v_add_f64 v[81:82], v[28:29], v[87:88]
	v_fma_f64 v[83:84], v[136:137], s[8:9], v[95:96]
	v_fma_f64 v[4:5], v[103:104], s[18:19], v[97:98]
	;; [unrolled: 1-line block ×6, first 2 shown]
	v_add_f64 v[130:131], v[56:57], -v[64:65]
	v_fma_f64 v[122:123], v[128:129], s[18:19], v[93:94]
	v_add_f64 v[20:21], v[36:37], v[20:21]
	v_add_f64 v[132:133], v[76:77], -v[48:49]
	v_add_f64 v[136:137], v[64:65], -v[56:57]
	v_mul_f64 v[87:88], v[16:17], s[8:9]
	v_add_f64 v[89:90], v[101:102], v[124:125]
	v_fma_f64 v[124:125], v[128:129], s[18:19], v[107:108]
	v_mul_f64 v[85:86], v[0:1], s[6:7]
	v_mul_f64 v[93:94], v[120:121], s[6:7]
	;; [unrolled: 1-line block ×3, first 2 shown]
	v_add_f64 v[104:105], v[12:13], v[81:82]
	v_fma_f64 v[36:37], v[126:127], s[18:19], v[83:84]
	v_and_b32_e32 v101, 1, v80
	v_add_f64 v[128:129], v[48:49], -v[76:77]
	v_add_f64 v[108:109], v[70:71], v[74:75]
	v_fma_f64 v[110:111], v[126:127], s[18:19], v[91:92]
	v_add_f64 v[126:127], v[72:73], -v[52:53]
	v_mul_u32_u24_e32 v102, 10, v114
	v_cmp_eq_u32_e64 s0, 1, v101
	v_lshl_add_u32 v102, v102, 3, 0
	v_cndmask_b32_e64 v103, 0, 0x780, s0
	v_add_f64 v[132:133], v[132:133], v[136:137]
	v_fma_f64 v[136:137], v[150:151], -0.5, v[46:47]
	v_fma_f64 v[106:107], v[4:5], s[20:21], v[87:88]
	v_add_f64 v[87:88], v[48:49], v[56:57]
	v_fma_f64 v[91:92], v[89:90], s[18:19], v[95:96]
	v_fma_f64 v[84:85], v[124:125], s[18:19], v[85:86]
	;; [unrolled: 1-line block ×5, first 2 shown]
	v_add_f64 v[80:81], v[20:21], v[104:105]
	v_lshl_add_u32 v135, v103, 3, v102
	v_add_f64 v[99:100], v[60:61], -v[68:69]
	v_fma_f64 v[154:155], v[108:109], -0.5, v[46:47]
	v_add_f64 v[140:141], v[140:141], v[126:127]
	v_add_f64 v[126:127], v[68:69], v[72:73]
	;; [unrolled: 1-line block ×3, first 2 shown]
	v_fma_f64 v[148:149], v[87:88], -0.5, v[40:41]
	v_add_f64 v[86:87], v[104:105], -v[20:21]
	v_add_f64 v[20:21], v[62:63], -v[70:71]
	;; [unrolled: 1-line block ×4, first 2 shown]
	v_add_f64 v[88:89], v[91:92], v[84:85]
	v_add_f64 v[90:91], v[95:96], v[93:94]
	;; [unrolled: 1-line block ×3, first 2 shown]
	v_add_f64 v[108:109], v[95:96], -v[93:94]
	v_add_f64 v[110:111], v[110:111], -v[97:98]
	;; [unrolled: 1-line block ×3, first 2 shown]
	v_add_f64 v[94:95], v[128:129], v[130:131]
	v_add_f64 v[92:93], v[70:71], -v[62:63]
	v_fma_f64 v[96:97], v[144:145], -0.5, v[40:41]
	v_add_f64 v[98:99], v[99:100], v[138:139]
	v_fma_f64 v[100:101], v[152:153], s[16:17], v[154:155]
	v_fma_f64 v[138:139], v[152:153], s[6:7], v[154:155]
	v_fma_f64 v[126:127], v[126:127], -0.5, v[44:45]
	v_add_f64 v[40:41], v[40:41], v[48:49]
	ds_write_b128 v135, v[80:83]
	v_add_f64 v[80:81], v[72:73], -v[68:69]
	v_add_f64 v[82:83], v[74:75], -v[54:55]
	v_fma_f64 v[128:129], v[146:147], s[16:17], v[148:149]
	v_fma_f64 v[130:131], v[146:147], s[6:7], v[148:149]
	v_add_f64 v[142:143], v[20:21], v[142:143]
	v_add_f64 v[20:21], v[52:53], v[60:61]
	v_add_f64 v[148:149], v[74:75], -v[70:71]
	ds_write_b128 v135, v[88:91] offset:16
	ds_write_b128 v135, v[84:87] offset:32
	;; [unrolled: 1-line block ×4, first 2 shown]
	v_add_f64 v[40:41], v[40:41], v[76:77]
	v_fma_f64 v[100:101], v[80:81], s[14:15], v[100:101]
	v_add_f64 v[82:83], v[92:93], v[82:83]
	v_fma_f64 v[92:93], v[36:37], s[6:7], v[96:97]
	v_fma_f64 v[96:97], v[36:37], s[16:17], v[96:97]
	;; [unrolled: 1-line block ×6, first 2 shown]
	v_add_f64 v[136:137], v[54:55], -v[62:63]
	v_fma_f64 v[20:21], v[20:21], -0.5, v[44:45]
	v_fma_f64 v[80:81], v[80:81], s[8:9], v[138:139]
	v_add_f64 v[44:45], v[44:45], v[52:53]
	v_add_f64 v[40:41], v[40:41], v[64:65]
	v_fma_f64 v[36:37], v[132:133], s[18:19], v[36:37]
	v_fma_f64 v[128:129], v[152:153], s[14:15], v[128:129]
	;; [unrolled: 1-line block ×7, first 2 shown]
	v_add_f64 v[40:41], v[56:57], v[40:41]
	v_fma_f64 v[152:153], v[148:149], s[8:9], v[130:131]
	v_fma_f64 v[148:149], v[148:149], s[14:15], v[126:127]
	;; [unrolled: 1-line block ×8, first 2 shown]
	v_add_f64 v[80:81], v[44:45], v[72:73]
	v_fma_f64 v[82:83], v[146:147], s[8:9], v[92:93]
	v_fma_f64 v[92:93], v[146:147], s[14:15], v[96:97]
	;; [unrolled: 1-line block ×6, first 2 shown]
	v_mul_f64 v[136:137], v[126:127], s[8:9]
	v_mul_f64 v[100:101], v[130:131], s[6:7]
	;; [unrolled: 1-line block ×3, first 2 shown]
	v_add_f64 v[80:81], v[68:69], v[80:81]
	v_fma_f64 v[68:69], v[98:99], s[18:19], v[152:153]
	v_mul_f64 v[98:99], v[20:21], s[8:9]
	v_fma_f64 v[96:97], v[94:95], s[18:19], v[92:93]
	v_fma_f64 v[94:95], v[94:95], s[18:19], v[82:83]
	;; [unrolled: 1-line block ×5, first 2 shown]
	v_add_f64 v[60:61], v[60:61], v[80:81]
	v_fma_f64 v[98:99], v[68:69], s[20:21], v[98:99]
	v_add_f64 v[80:81], v[138:139], v[140:141]
	v_add_f64 v[82:83], v[36:37], v[92:93]
	;; [unrolled: 1-line block ×3, first 2 shown]
	v_add_f64 v[86:87], v[40:41], -v[60:61]
	v_add_f64 v[90:91], v[138:139], -v[140:141]
	;; [unrolled: 1-line block ×3, first 2 shown]
	s_and_saveexec_b32 s0, s1
	s_cbranch_execz .LBB0_17
; %bb.16:
	v_add_f64 v[96:97], v[96:97], -v[100:101]
	v_add_f64 v[100:101], v[94:95], v[98:99]
	v_add_f64 v[98:99], v[40:41], v[60:61]
	v_add_f64 v[94:95], v[36:37], -v[92:93]
	ds_write_b128 v135, v[80:83] offset:9616
	ds_write_b128 v135, v[84:87] offset:9632
	;; [unrolled: 1-line block ×5, first 2 shown]
.LBB0_17:
	s_or_b32 exec_lo, exec_lo, s0
	v_lshlrev_b32_e32 v115, 3, v103
	v_mul_i32_i24_e32 v36, 0xffffffb8, v114
	v_lshlrev_b32_e32 v134, 3, v114
	s_waitcnt lgkmcnt(0)
	s_barrier
	buffer_gl0_inv
	v_add3_u32 v132, v102, v36, v115
	v_add3_u32 v133, 0, v115, v134
	v_cmp_gt_u32_e64 s0, 0x50, v114
	v_add_nc_u32_e32 v36, 0x300, v132
	v_add_nc_u32_e32 v37, 0xd00, v132
	;; [unrolled: 1-line block ×5, first 2 shown]
	ds_read2_b64 v[92:95], v36 offset0:24 offset1:224
	ds_read2_b64 v[108:111], v37 offset0:24 offset1:224
	;; [unrolled: 1-line block ×5, first 2 shown]
	ds_read_b64 v[36:37], v133
	ds_read_b64 v[40:41], v132 offset:13760
	s_and_saveexec_b32 s6, s0
	s_cbranch_execz .LBB0_19
; %bb.18:
	v_add_nc_u32_e32 v60, 0x180, v132
	ds_read2st64_b64 v[80:83], v60 offset0:3 offset1:8
	ds_read2st64_b64 v[84:87], v60 offset0:13 offset1:18
	;; [unrolled: 1-line block ×3, first 2 shown]
.LBB0_19:
	s_or_b32 exec_lo, exec_lo, s6
	v_add_f64 v[60:61], v[34:35], v[30:31]
	v_add_f64 v[136:137], v[10:11], v[14:15]
	;; [unrolled: 1-line block ×5, first 2 shown]
	v_add_f64 v[8:9], v[8:9], -v[12:13]
	v_add_f64 v[12:13], v[32:33], -v[28:29]
	v_add_f64 v[2:3], v[2:3], v[18:19]
	v_add_f64 v[18:19], v[42:43], v[50:51]
	;; [unrolled: 1-line block ×3, first 2 shown]
	v_add_f64 v[48:49], v[48:49], -v[56:57]
	s_mov_b32 s6, 0x134454ff
	s_mov_b32 s7, 0x3fee6f0e
	;; [unrolled: 1-line block ×4, first 2 shown]
	v_add_f64 v[28:29], v[10:11], -v[34:35]
	v_add_f64 v[32:33], v[14:15], -v[30:31]
	;; [unrolled: 1-line block ×4, first 2 shown]
	s_mov_b32 s8, 0x4755a5e
	s_mov_b32 s14, 0x372fe950
	;; [unrolled: 1-line block ×3, first 2 shown]
	v_fma_f64 v[54:55], v[60:61], -0.5, v[6:7]
	v_fma_f64 v[6:7], v[136:137], -0.5, v[6:7]
	v_add_f64 v[60:61], v[76:77], -v[64:65]
	v_fma_f64 v[64:65], v[138:139], -0.5, v[42:43]
	v_fma_f64 v[42:43], v[142:143], -0.5, v[42:43]
	v_add_f64 v[76:77], v[50:51], -v[78:79]
	v_add_f64 v[136:137], v[58:59], -v[66:67]
	;; [unrolled: 1-line block ×3, first 2 shown]
	v_add_f64 v[34:35], v[34:35], v[140:141]
	v_add_f64 v[2:3], v[2:3], v[38:39]
	v_add_f64 v[18:19], v[18:19], v[78:79]
	v_add_f64 v[38:39], v[46:47], v[74:75]
	v_add_f64 v[78:79], v[66:67], -v[58:59]
	s_mov_b32 s15, 0x3fd3c6ef
	s_mov_b32 s19, 0xbfe2cf23
	;; [unrolled: 1-line block ×3, first 2 shown]
	v_mul_f64 v[16:17], v[16:17], s[20:21]
	v_mul_f64 v[124:125], v[124:125], s[6:7]
	;; [unrolled: 1-line block ×5, first 2 shown]
	v_add_f64 v[28:29], v[28:29], v[32:33]
	v_fma_f64 v[46:47], v[8:9], s[6:7], v[54:55]
	v_fma_f64 v[74:75], v[12:13], s[16:17], v[6:7]
	;; [unrolled: 1-line block ×8, first 2 shown]
	v_add_f64 v[10:11], v[10:11], v[56:57]
	v_add_f64 v[30:31], v[30:31], v[34:35]
	;; [unrolled: 1-line block ×5, first 2 shown]
	v_mul_f64 v[38:39], v[126:127], s[20:21]
	v_add_f64 v[50:51], v[50:51], v[78:79]
	v_mul_f64 v[120:121], v[120:121], s[14:15]
	s_waitcnt lgkmcnt(0)
	v_fma_f64 v[0:1], v[0:1], s[14:15], v[124:125]
	v_fma_f64 v[66:67], v[24:25], s[8:9], -v[118:119]
	s_barrier
	buffer_gl0_inv
	v_fma_f64 v[32:33], v[12:13], s[8:9], v[46:47]
	v_fma_f64 v[34:35], v[8:9], s[8:9], v[74:75]
	v_fma_f64 v[6:7], v[8:9], s[18:19], v[6:7]
	v_fma_f64 v[8:9], v[12:13], s[18:19], v[54:55]
	v_mul_f64 v[12:13], v[128:129], s[14:15]
	v_add_f64 v[46:47], v[76:77], v[136:137]
	v_fma_f64 v[54:55], v[48:49], s[8:9], v[138:139]
	v_fma_f64 v[48:49], v[48:49], s[18:19], v[64:65]
	;; [unrolled: 1-line block ×5, first 2 shown]
	v_add_f64 v[14:15], v[14:15], v[30:31]
	v_add_f64 v[2:3], v[2:3], v[22:23]
	;; [unrolled: 1-line block ×4, first 2 shown]
	v_fma_f64 v[22:23], v[20:21], s[20:21], v[68:69]
	v_fma_f64 v[68:69], v[52:53], s[6:7], v[130:131]
	v_fma_f64 v[64:65], v[122:123], s[6:7], -v[120:121]
	v_fma_f64 v[58:59], v[28:29], s[14:15], v[32:33]
	v_fma_f64 v[62:63], v[10:11], s[14:15], v[34:35]
	;; [unrolled: 1-line block ×4, first 2 shown]
	v_fma_f64 v[18:19], v[72:73], s[6:7], -v[12:13]
	v_fma_f64 v[6:7], v[44:45], s[8:9], -v[38:39]
	v_fma_f64 v[38:39], v[50:51], s[14:15], v[54:55]
	v_fma_f64 v[24:25], v[50:51], s[14:15], v[48:49]
	;; [unrolled: 1-line block ×4, first 2 shown]
	v_add_f64 v[28:29], v[2:3], v[14:15]
	v_add_f64 v[34:35], v[14:15], -v[2:3]
	v_add_f64 v[10:11], v[4:5], -v[16:17]
	v_add_f64 v[30:31], v[58:59], v[60:61]
	v_add_f64 v[42:43], v[62:63], v[0:1]
	v_add_f64 v[48:49], v[62:63], -v[0:1]
	v_add_f64 v[32:33], v[8:9], v[66:67]
	v_add_f64 v[52:53], v[8:9], -v[66:67]
	v_add_f64 v[44:45], v[70:71], v[64:65]
	v_add_f64 v[0:1], v[38:39], v[68:69]
	v_add_f64 v[2:3], v[24:25], v[18:19]
	v_add_f64 v[8:9], v[20:21], v[6:7]
	v_add_f64 v[12:13], v[26:27], -v[22:23]
	v_add_f64 v[14:15], v[38:39], -v[68:69]
	v_add_f64 v[46:47], v[58:59], -v[60:61]
	v_add_f64 v[50:51], v[70:71], -v[64:65]
	v_add_nc_u32_e32 v38, 0x78, v114
	ds_write_b128 v135, v[28:31]
	ds_write_b128 v135, v[42:45] offset:16
	ds_write_b128 v135, v[32:35] offset:32
	;; [unrolled: 1-line block ×4, first 2 shown]
	s_and_saveexec_b32 s6, s1
	s_cbranch_execz .LBB0_21
; %bb.20:
	v_add_f64 v[28:29], v[4:5], v[16:17]
	v_add_f64 v[30:31], v[26:27], v[22:23]
	v_add_f64 v[4:5], v[24:25], -v[18:19]
	v_add_f64 v[6:7], v[20:21], -v[6:7]
	v_mul_u32_u24_e32 v16, 10, v38
	v_lshlrev_b32_e32 v16, 3, v16
	v_add3_u32 v16, 0, v16, v115
	ds_write_b128 v16, v[0:3] offset:16
	ds_write_b128 v16, v[8:11] offset:32
	;; [unrolled: 1-line block ×3, first 2 shown]
	ds_write_b128 v16, v[28:31]
	ds_write_b128 v16, v[4:7] offset:64
.LBB0_21:
	s_or_b32 exec_lo, exec_lo, s6
	v_add_nc_u32_e32 v4, 0x300, v132
	v_add_nc_u32_e32 v16, 0xd00, v132
	;; [unrolled: 1-line block ×5, first 2 shown]
	s_waitcnt lgkmcnt(0)
	s_barrier
	buffer_gl0_inv
	ds_read2_b64 v[4:7], v4 offset0:24 offset1:224
	ds_read2_b64 v[28:31], v16 offset0:24 offset1:224
	;; [unrolled: 1-line block ×5, first 2 shown]
	ds_read_b64 v[32:33], v133
	ds_read_b64 v[34:35], v132 offset:13760
	s_and_saveexec_b32 s1, s0
	s_cbranch_execz .LBB0_23
; %bb.22:
	v_add_nc_u32_e32 v12, 0x180, v132
	ds_read2st64_b64 v[0:3], v12 offset0:3 offset1:8
	ds_read2st64_b64 v[8:11], v12 offset0:13 offset1:18
	;; [unrolled: 1-line block ×3, first 2 shown]
.LBB0_23:
	s_or_b32 exec_lo, exec_lo, s1
	v_and_b32_e32 v39, 0xff, v38
	v_and_b32_e32 v42, 0xff, v114
	v_add_nc_u32_e32 v48, 0xf0, v114
	v_mov_b32_e32 v46, 0xcccd
	s_mov_b32 s6, 0xe8584caa
	v_mul_lo_u16 v39, 0xcd, v39
	s_mov_b32 s7, 0xbfebb67a
	s_mov_b32 s9, 0x3febb67a
	v_mul_u32_u24_sdwa v46, v48, v46 dst_sel:DWORD dst_unused:UNUSED_PAD src0_sel:WORD_0 src1_sel:DWORD
	s_mov_b32 s8, s6
	v_lshrrev_b16 v79, 11, v39
	v_mul_lo_u16 v39, 0xcd, v42
	v_lshrrev_b32_e32 v156, 19, v46
	v_mul_lo_u16 v42, v79, 10
	v_lshrrev_b16 v153, 11, v39
	v_mov_b32_e32 v39, 5
	v_mul_lo_u16 v46, v156, 10
	v_and_b32_e32 v79, 0xffff, v79
	v_sub_nc_u16 v154, v38, v42
	v_mul_lo_u16 v38, v153, 10
	v_sub_nc_u16 v46, v48, v46
	v_mul_u32_u24_sdwa v42, v154, v39 dst_sel:DWORD dst_unused:UNUSED_PAD src0_sel:BYTE_0 src1_sel:DWORD
	v_sub_nc_u16 v155, v114, v38
	v_and_b32_e32 v157, 0xffff, v46
	v_lshlrev_b32_e32 v38, 4, v42
	v_mul_u32_u24_sdwa v39, v155, v39 dst_sel:DWORD dst_unused:UNUSED_PAD src0_sel:BYTE_0 src1_sel:DWORD
	global_load_dwordx4 v[42:45], v38, s[12:13] offset:64
	v_lshlrev_b32_e32 v39, 4, v39
	s_clause 0x8
	global_load_dwordx4 v[49:52], v39, s[12:13] offset:32
	global_load_dwordx4 v[53:56], v39, s[12:13] offset:64
	;; [unrolled: 1-line block ×4, first 2 shown]
	global_load_dwordx4 v[65:68], v38, s[12:13]
	global_load_dwordx4 v[69:72], v39, s[12:13]
	global_load_dwordx4 v[73:76], v39, s[12:13] offset:48
	global_load_dwordx4 v[118:121], v38, s[12:13] offset:16
	;; [unrolled: 1-line block ×3, first 2 shown]
	v_mul_u32_u24_e32 v38, 5, v157
	v_lshlrev_b32_e32 v38, 4, v38
	s_clause 0x4
	global_load_dwordx4 v[126:129], v38, s[12:13] offset:32
	global_load_dwordx4 v[135:138], v38, s[12:13] offset:64
	global_load_dwordx4 v[139:142], v38, s[12:13]
	global_load_dwordx4 v[143:146], v38, s[12:13] offset:16
	global_load_dwordx4 v[147:150], v38, s[12:13] offset:48
	s_waitcnt vmcnt(0) lgkmcnt(0)
	s_barrier
	buffer_gl0_inv
	v_mul_f64 v[38:39], v[34:35], v[44:45]
	v_mul_f64 v[44:45], v[40:41], v[44:45]
	;; [unrolled: 1-line block ×8, first 2 shown]
	v_fma_f64 v[151:152], v[40:41], v[42:43], v[38:39]
	v_mul_f64 v[38:39], v[110:111], v[63:64]
	v_fma_f64 v[34:35], v[34:35], v[42:43], -v[44:45]
	v_mul_f64 v[44:45], v[94:95], v[71:72]
	v_fma_f64 v[40:41], v[18:19], v[49:50], -v[46:47]
	v_fma_f64 v[18:19], v[22:23], v[53:54], -v[77:78]
	v_mul_f64 v[42:43], v[108:109], v[67:68]
	v_fma_f64 v[22:23], v[24:25], v[57:58], -v[130:131]
	v_fma_f64 v[46:47], v[98:99], v[49:50], v[51:52]
	v_mul_f64 v[49:50], v[30:31], v[63:64]
	v_mul_f64 v[51:52], v[28:29], v[67:68]
	v_fma_f64 v[55:56], v[102:103], v[53:54], v[55:56]
	v_mul_f64 v[53:54], v[6:7], v[71:72]
	v_mul_f64 v[63:64], v[26:27], v[75:76]
	;; [unrolled: 3-line block ×3, first 2 shown]
	v_mul_f64 v[98:99], v[14:15], v[137:138]
	v_and_b32_e32 v130, 0xffff, v153
	v_fma_f64 v[30:31], v[30:31], v[61:62], -v[38:39]
	v_mul_f64 v[38:39], v[16:17], v[120:121]
	v_fma_f64 v[6:7], v[6:7], v[69:70], -v[44:45]
	v_add_f64 v[44:45], v[40:41], v[18:19]
	v_fma_f64 v[24:25], v[28:29], v[65:66], -v[42:43]
	v_mul_f64 v[42:43], v[20:21], v[124:125]
	v_add_f64 v[67:68], v[22:23], v[34:35]
	v_fma_f64 v[28:29], v[110:111], v[61:62], v[49:50]
	v_mul_f64 v[49:50], v[106:107], v[75:76]
	v_mul_f64 v[61:62], v[96:97], v[120:121]
	v_fma_f64 v[65:66], v[108:109], v[65:66], v[51:52]
	v_mul_f64 v[75:76], v[10:11], v[128:129]
	v_fma_f64 v[69:70], v[94:95], v[69:70], v[53:54]
	v_mul_f64 v[94:95], v[90:91], v[137:138]
	v_fma_f64 v[59:60], v[106:107], v[73:74], v[63:64]
	v_add_f64 v[63:64], v[46:47], v[55:56]
	v_add_f64 v[102:103], v[57:58], -v[151:152]
	v_mul_f64 v[106:107], v[2:3], v[141:142]
	v_mul_f64 v[108:109], v[82:83], v[141:142]
	;; [unrolled: 1-line block ×3, first 2 shown]
	v_fma_f64 v[51:52], v[96:97], v[118:119], v[38:39]
	v_add_f64 v[96:97], v[46:47], -v[55:56]
	v_fma_f64 v[44:45], v[44:45], -0.5, v[6:7]
	v_fma_f64 v[53:54], v[100:101], v[122:123], v[42:43]
	v_add_f64 v[100:101], v[57:58], v[151:152]
	v_fma_f64 v[104:105], v[67:68], -0.5, v[24:25]
	v_fma_f64 v[26:27], v[26:27], v[73:74], -v[49:50]
	v_fma_f64 v[67:68], v[16:17], v[118:119], -v[61:62]
	;; [unrolled: 1-line block ×3, first 2 shown]
	v_fma_f64 v[86:87], v[86:87], v[126:127], v[75:76]
	v_fma_f64 v[42:43], v[10:11], v[126:127], -v[77:78]
	v_fma_f64 v[77:78], v[90:91], v[135:136], v[98:99]
	v_fma_f64 v[38:39], v[14:15], v[135:136], -v[94:95]
	v_add_f64 v[20:21], v[28:29], v[59:60]
	v_add_f64 v[49:50], v[40:41], -v[18:19]
	v_fma_f64 v[63:64], v[63:64], -0.5, v[69:70]
	v_add_f64 v[90:91], v[22:23], -v[34:35]
	v_fma_f64 v[82:83], v[82:83], v[139:140], v[106:107]
	v_add_f64 v[46:47], v[69:70], v[46:47]
	v_add_f64 v[57:58], v[65:66], v[57:58]
	v_mul_f64 v[106:107], v[84:85], v[145:146]
	v_fma_f64 v[75:76], v[96:97], s[8:9], v[44:45]
	v_fma_f64 v[73:74], v[96:97], s[6:7], v[44:45]
	v_add_f64 v[61:62], v[51:52], v[53:54]
	v_fma_f64 v[94:95], v[100:101], -0.5, v[65:66]
	v_fma_f64 v[14:15], v[102:103], s[8:9], v[104:105]
	v_fma_f64 v[10:11], v[102:103], s[6:7], v[104:105]
	v_fma_f64 v[44:45], v[2:3], v[139:140], -v[108:109]
	v_add_f64 v[96:97], v[36:37], v[28:29]
	v_add_f64 v[98:99], v[30:31], -v[26:27]
	v_add_f64 v[100:101], v[92:93], v[51:52]
	v_add_f64 v[65:66], v[86:87], v[77:78]
	;; [unrolled: 1-line block ×3, first 2 shown]
	v_fma_f64 v[36:37], v[20:21], -0.5, v[36:37]
	v_add_f64 v[102:103], v[67:68], -v[16:17]
	v_fma_f64 v[71:72], v[49:50], s[6:7], v[63:64]
	v_fma_f64 v[2:3], v[49:50], s[8:9], v[63:64]
	v_mul_f64 v[108:109], v[12:13], v[149:150]
	v_add_f64 v[118:119], v[42:43], -v[38:39]
	v_add_f64 v[46:47], v[46:47], v[55:56]
	v_add_f64 v[57:58], v[57:58], v[151:152]
	v_mul_f64 v[49:50], v[75:76], s[6:7]
	v_mul_f64 v[63:64], v[73:74], s[6:7]
	v_fma_f64 v[61:62], v[61:62], -0.5, v[92:93]
	v_fma_f64 v[20:21], v[90:91], s[6:7], v[94:95]
	v_fma_f64 v[69:70], v[90:91], s[8:9], v[94:95]
	v_mul_f64 v[90:91], v[14:15], s[6:7]
	v_mul_f64 v[92:93], v[10:11], s[6:7]
	;; [unrolled: 1-line block ×3, first 2 shown]
	v_add_f64 v[96:97], v[96:97], v[59:60]
	v_add_f64 v[55:56], v[100:101], v[53:54]
	v_add_f64 v[100:101], v[86:87], -v[77:78]
	v_fma_f64 v[120:121], v[65:66], -0.5, v[82:83]
	v_fma_f64 v[104:105], v[104:105], -0.5, v[44:45]
	v_fma_f64 v[122:123], v[98:99], s[6:7], v[36:37]
	v_fma_f64 v[98:99], v[98:99], s[8:9], v[36:37]
	v_fma_f64 v[65:66], v[8:9], v[143:144], -v[106:107]
	v_fma_f64 v[36:37], v[12:13], v[147:148], -v[110:111]
	v_mov_b32_e32 v8, 3
	v_mad_u32_u24 v9, 0x1e0, v130, 0
	v_fma_f64 v[124:125], v[71:72], 0.5, v[49:50]
	v_fma_f64 v[126:127], v[2:3], -0.5, v[63:64]
	v_fma_f64 v[128:129], v[102:103], s[6:7], v[61:62]
	v_fma_f64 v[102:103], v[102:103], s[8:9], v[61:62]
	;; [unrolled: 1-line block ×3, first 2 shown]
	v_fma_f64 v[90:91], v[20:21], 0.5, v[90:91]
	v_fma_f64 v[92:93], v[69:70], -0.5, v[92:93]
	v_fma_f64 v[61:62], v[84:85], v[143:144], v[94:95]
	v_add_f64 v[12:13], v[96:97], v[46:47]
	v_add_f64 v[94:95], v[96:97], -v[46:47]
	v_add_f64 v[96:97], v[55:56], v[57:58]
	v_add_f64 v[106:107], v[55:56], -v[57:58]
	v_fma_f64 v[46:47], v[118:119], s[6:7], v[120:121]
	v_fma_f64 v[49:50], v[118:119], s[8:9], v[120:121]
	;; [unrolled: 1-line block ×4, first 2 shown]
	v_mad_u32_u24 v84, 0x1e0, v79, 0
	v_lshlrev_b32_sdwa v85, v8, v155 dst_sel:DWORD dst_unused:UNUSED_PAD src0_sel:DWORD src1_sel:BYTE_0
	v_mul_lo_u16 v79, v156, 60
	v_add3_u32 v88, v9, v85, v115
	v_add_f64 v[100:101], v[122:123], v[124:125]
	v_add_f64 v[104:105], v[98:99], v[126:127]
	v_add_f64 v[108:109], v[122:123], -v[124:125]
	v_add_f64 v[98:99], v[98:99], -v[126:127]
	v_add_f64 v[110:111], v[128:129], v[90:91]
	v_add_f64 v[118:119], v[102:103], v[92:93]
	v_add_f64 v[89:90], v[128:129], -v[90:91]
	v_add_f64 v[91:92], v[102:103], -v[92:93]
	v_lshlrev_b32_sdwa v93, v8, v154 dst_sel:DWORD dst_unused:UNUSED_PAD src0_sel:DWORD src1_sel:BYTE_0
	v_add3_u32 v85, v84, v93, v115
	v_lshl_add_u32 v84, v157, 3, 0
	ds_write2_b64 v88, v[12:13], v[100:101] offset1:10
	ds_write2_b64 v88, v[104:105], v[94:95] offset0:20 offset1:30
	ds_write2_b64 v88, v[108:109], v[98:99] offset0:40 offset1:50
	ds_write2_b64 v85, v[96:97], v[110:111] offset1:10
	ds_write2_b64 v85, v[118:119], v[106:107] offset0:20 offset1:30
	ds_write2_b64 v85, v[89:90], v[91:92] offset0:40 offset1:50
	s_and_saveexec_b32 s1, s0
	s_cbranch_execz .LBB0_25
; %bb.24:
	v_add_f64 v[12:13], v[61:62], v[63:64]
	v_add_f64 v[89:90], v[65:66], -v[36:37]
	v_mul_f64 v[91:92], v[55:56], s[6:7]
	v_add_f64 v[93:94], v[80:81], v[61:62]
	v_add_f64 v[82:83], v[82:83], v[86:87]
	v_mul_f64 v[86:87], v[57:58], s[6:7]
	v_lshlrev_b32_sdwa v8, v8, v79 dst_sel:DWORD dst_unused:UNUSED_PAD src0_sel:DWORD src1_sel:WORD_0
	v_add3_u32 v8, v84, v8, v115
	v_fma_f64 v[12:13], v[12:13], -0.5, v[80:81]
	v_fma_f64 v[80:81], v[49:50], -0.5, v[91:92]
	v_add_f64 v[91:92], v[93:94], v[63:64]
	v_add_f64 v[77:78], v[82:83], v[77:78]
	v_fma_f64 v[82:83], v[46:47], 0.5, v[86:87]
	v_fma_f64 v[86:87], v[89:90], s[8:9], v[12:13]
	v_fma_f64 v[12:13], v[89:90], s[6:7], v[12:13]
	v_add_f64 v[89:90], v[91:92], -v[77:78]
	v_add_f64 v[77:78], v[91:92], v[77:78]
	v_add_f64 v[91:92], v[86:87], -v[80:81]
	v_add_f64 v[93:94], v[12:13], v[82:83]
	v_add_f64 v[80:81], v[86:87], v[80:81]
	v_add_f64 v[12:13], v[12:13], -v[82:83]
	ds_write2_b64 v8, v[77:78], v[93:94] offset1:10
	ds_write2_b64 v8, v[80:81], v[89:90] offset0:20 offset1:30
	ds_write2_b64 v8, v[12:13], v[91:92] offset0:40 offset1:50
.LBB0_25:
	s_or_b32 exec_lo, exec_lo, s1
	v_add_f64 v[8:9], v[30:31], v[26:27]
	v_add_f64 v[12:13], v[67:68], v[16:17]
	;; [unrolled: 1-line block ×3, first 2 shown]
	v_add_f64 v[28:29], v[28:29], -v[59:60]
	v_add_f64 v[6:7], v[6:7], v[40:41]
	v_mul_f64 v[75:76], v[75:76], 0.5
	v_add_f64 v[67:68], v[4:5], v[67:68]
	v_add_f64 v[22:23], v[24:25], v[22:23]
	v_mul_f64 v[24:25], v[73:74], -0.5
	v_mul_f64 v[14:15], v[14:15], 0.5
	v_mul_f64 v[10:11], v[10:11], -0.5
	v_add3_u32 v59, 0, v134, v115
	v_add_nc_u32_e32 v40, 0x1c00, v132
	s_waitcnt lgkmcnt(0)
	s_barrier
	buffer_gl0_inv
	v_add_nc_u32_e32 v41, 0x400, v59
	v_add_nc_u32_e32 v60, 0x2c00, v59
	v_fma_f64 v[8:9], v[8:9], -0.5, v[32:33]
	v_add_f64 v[32:33], v[51:52], -v[53:54]
	v_fma_f64 v[4:5], v[12:13], -0.5, v[4:5]
	v_add_f64 v[12:13], v[30:31], v[26:27]
	v_add_f64 v[18:19], v[6:7], v[18:19]
	v_fma_f64 v[52:53], v[71:72], s[8:9], v[75:76]
	v_add_f64 v[71:72], v[67:68], v[16:17]
	v_add_f64 v[22:23], v[22:23], v[34:35]
	v_fma_f64 v[24:25], v[2:3], s[8:9], v[24:25]
	v_fma_f64 v[20:21], v[20:21], s[8:9], v[14:15]
	;; [unrolled: 1-line block ×3, first 2 shown]
	v_add_nc_u32_e32 v51, 0x2400, v59
	v_add_nc_u32_e32 v35, 0xc00, v59
	;; [unrolled: 1-line block ×4, first 2 shown]
	v_fma_f64 v[73:74], v[28:29], s[8:9], v[8:9]
	v_fma_f64 v[75:76], v[28:29], s[6:7], v[8:9]
	;; [unrolled: 1-line block ×4, first 2 shown]
	v_add_f64 v[80:81], v[12:13], v[18:19]
	ds_read_b64 v[30:31], v133
	ds_read_b64 v[32:33], v132 offset:960
	ds_read2_b64 v[14:17], v40 offset0:64 offset1:184
	ds_read2_b64 v[26:29], v41 offset0:112 offset1:232
	;; [unrolled: 1-line block ×4, first 2 shown]
	v_add_f64 v[82:83], v[12:13], -v[18:19]
	v_add_f64 v[86:87], v[71:72], v[22:23]
	v_add_f64 v[70:71], v[71:72], -v[22:23]
	v_add_f64 v[89:90], v[73:74], v[52:53]
	v_add_f64 v[91:92], v[75:76], v[24:25]
	v_add_f64 v[52:53], v[73:74], -v[52:53]
	v_add_f64 v[72:73], v[75:76], -v[24:25]
	v_add_f64 v[74:75], v[68:69], v[20:21]
	v_add_f64 v[93:94], v[77:78], v[10:11]
	v_add_f64 v[68:69], v[68:69], -v[20:21]
	v_add_f64 v[76:77], v[77:78], -v[10:11]
	ds_read2_b64 v[22:25], v51 offset0:48 offset1:168
	ds_read2_b64 v[18:21], v60 offset0:32 offset1:152
	;; [unrolled: 1-line block ×3, first 2 shown]
	s_waitcnt lgkmcnt(0)
	s_barrier
	buffer_gl0_inv
	ds_write2_b64 v88, v[80:81], v[89:90] offset1:10
	ds_write2_b64 v88, v[91:92], v[82:83] offset0:20 offset1:30
	ds_write2_b64 v88, v[52:53], v[72:73] offset0:40 offset1:50
	ds_write2_b64 v85, v[86:87], v[74:75] offset1:10
	ds_write2_b64 v85, v[93:94], v[70:71] offset0:20 offset1:30
	ds_write2_b64 v85, v[68:69], v[76:77] offset0:40 offset1:50
	s_and_saveexec_b32 s1, s0
	s_cbranch_execz .LBB0_27
; %bb.26:
	v_add_f64 v[52:53], v[65:66], v[36:37]
	v_add_f64 v[65:66], v[0:1], v[65:66]
	v_add_f64 v[61:62], v[61:62], -v[63:64]
	v_add_f64 v[42:43], v[44:45], v[42:43]
	v_mul_f64 v[44:45], v[57:58], 0.5
	v_mul_f64 v[54:55], v[55:56], -0.5
	s_mov_b32 s6, 0xe8584caa
	s_mov_b32 s7, 0x3febb67a
	;; [unrolled: 1-line block ×4, first 2 shown]
	v_fma_f64 v[0:1], v[52:53], -0.5, v[0:1]
	v_add_f64 v[36:37], v[65:66], v[36:37]
	v_add_f64 v[38:39], v[42:43], v[38:39]
	v_fma_f64 v[42:43], v[46:47], s[6:7], v[44:45]
	v_fma_f64 v[44:45], v[49:50], s[6:7], v[54:55]
	;; [unrolled: 1-line block ×4, first 2 shown]
	v_add_f64 v[49:50], v[36:37], v[38:39]
	v_add_f64 v[36:37], v[36:37], -v[38:39]
	v_add_f64 v[38:39], v[46:47], v[42:43]
	v_add_f64 v[52:53], v[0:1], v[44:45]
	v_add_f64 v[42:43], v[46:47], -v[42:43]
	v_add_f64 v[0:1], v[0:1], -v[44:45]
	v_mov_b32_e32 v44, 3
	v_lshlrev_b32_sdwa v44, v44, v79 dst_sel:DWORD dst_unused:UNUSED_PAD src0_sel:DWORD src1_sel:WORD_0
	v_add3_u32 v44, v84, v44, v115
	ds_write2_b64 v44, v[49:50], v[38:39] offset1:10
	ds_write2_b64 v44, v[52:53], v[36:37] offset0:20 offset1:30
	ds_write2_b64 v44, v[42:43], v[0:1] offset0:40 offset1:50
.LBB0_27:
	s_or_b32 exec_lo, exec_lo, s1
	v_subrev_nc_u32_e32 v0, 60, v114
	v_cmp_gt_u32_e64 s0, 60, v114
	v_mov_b32_e32 v50, 0
	s_waitcnt lgkmcnt(0)
	s_barrier
	buffer_gl0_inv
	v_cndmask_b32_e64 v0, v0, v114, s0
	s_mov_b32 s6, 0x667f3bcd
	s_mov_b32 s7, 0xbfe6a09e
	;; [unrolled: 1-line block ×4, first 2 shown]
	v_mul_i32_i24_e32 v49, 15, v0
	s_mov_b32 s14, 0xcf328d46
	s_mov_b32 s16, 0xa6aea964
	;; [unrolled: 1-line block ×4, first 2 shown]
	v_lshlrev_b64 v[36:37], 4, v[49:50]
	s_mov_b32 s1, 0xbfd87de2
	s_mov_b32 s19, 0x3fed906b
	;; [unrolled: 1-line block ×3, first 2 shown]
	v_add_co_u32 v46, s0, s12, v36
	v_add_co_ci_u32_e64 v47, s0, s13, v37, s0
	v_cmp_lt_u32_e64 s0, 59, v114
	s_clause 0xe
	global_load_dwordx4 v[36:39], v[46:47], off offset:816
	global_load_dwordx4 v[42:45], v[46:47], off offset:832
	;; [unrolled: 1-line block ×15, first 2 shown]
	ds_read2_b64 v[118:121], v41 offset0:112 offset1:232
	ds_read_b64 v[65:66], v132 offset:960
	ds_read2_b64 v[122:125], v40 offset0:64 offset1:184
	s_waitcnt vmcnt(14) lgkmcnt(2)
	v_mul_f64 v[130:131], v[118:119], v[38:39]
	v_mul_f64 v[38:39], v[26:27], v[38:39]
	s_waitcnt vmcnt(13)
	v_mul_f64 v[138:139], v[120:121], v[44:45]
	v_mul_f64 v[140:141], v[28:29], v[44:45]
	ds_read2_b64 v[44:47], v51 offset0:48 offset1:168
	ds_read_b64 v[142:143], v133
	s_waitcnt vmcnt(12) lgkmcnt(3)
	v_mul_f64 v[144:145], v[65:66], v[54:55]
	v_mul_f64 v[146:147], v[32:33], v[54:55]
	ds_read2_b64 v[54:57], v35 offset0:96 offset1:216
	ds_read2_b64 v[126:129], v34 offset0:80 offset1:200
	;; [unrolled: 1-line block ×3, first 2 shown]
	s_waitcnt vmcnt(11)
	v_mul_f64 v[148:149], v[2:3], v[63:64]
	s_waitcnt vmcnt(10)
	v_mul_f64 v[150:151], v[4:5], v[70:71]
	;; [unrolled: 2-line block ×4, first 2 shown]
	v_fma_f64 v[130:131], v[26:27], v[36:37], v[130:131]
	v_fma_f64 v[36:37], v[118:119], v[36:37], -v[38:39]
	s_waitcnt vmcnt(7) lgkmcnt(5)
	v_mul_f64 v[38:39], v[122:123], v[82:83]
	v_fma_f64 v[138:139], v[28:29], v[42:43], v[138:139]
	v_fma_f64 v[42:43], v[120:121], v[42:43], -v[140:141]
	s_waitcnt vmcnt(5)
	v_mul_f64 v[120:121], v[18:19], v[90:91]
	s_waitcnt vmcnt(2) lgkmcnt(4)
	v_mul_f64 v[158:159], v[46:47], v[102:103]
	ds_read2_b64 v[26:29], v67 offset0:16 offset1:136
	v_mul_f64 v[118:119], v[124:125], v[86:87]
	v_mul_f64 v[140:141], v[20:21], v[94:95]
	;; [unrolled: 1-line block ×3, first 2 shown]
	v_fma_f64 v[32:33], v[32:33], v[52:53], v[144:145]
	v_fma_f64 v[52:53], v[65:66], v[52:53], -v[146:147]
	s_waitcnt vmcnt(1)
	v_mul_f64 v[65:66], v[10:11], v[106:107]
	s_waitcnt vmcnt(0)
	v_mul_f64 v[144:145], v[12:13], v[110:111]
	s_waitcnt lgkmcnt(3)
	v_mul_f64 v[63:64], v[54:55], v[63:64]
	v_mul_f64 v[70:71], v[56:57], v[70:71]
	s_waitcnt lgkmcnt(2)
	v_mul_f64 v[74:75], v[126:127], v[74:75]
	v_mul_f64 v[78:79], v[128:129], v[78:79]
	;; [unrolled: 1-line block ×4, first 2 shown]
	s_waitcnt lgkmcnt(1)
	v_mul_f64 v[90:91], v[134:135], v[90:91]
	v_mul_f64 v[94:95], v[136:137], v[94:95]
	v_fma_f64 v[54:55], v[54:55], v[61:62], -v[148:149]
	v_fma_f64 v[14:15], v[14:15], v[80:81], v[38:39]
	v_mul_f64 v[38:39], v[22:23], v[98:99]
	v_fma_f64 v[56:57], v[56:57], v[68:69], -v[150:151]
	v_fma_f64 v[98:99], v[134:135], v[88:89], -v[120:121]
	s_waitcnt lgkmcnt(0)
	v_mul_f64 v[106:107], v[26:27], v[106:107]
	v_fma_f64 v[120:121], v[24:25], v[100:101], v[158:159]
	v_mul_f64 v[24:25], v[24:25], v[102:103]
	v_mul_f64 v[102:103], v[28:29], v[110:111]
	v_fma_f64 v[126:127], v[126:127], v[72:73], -v[152:153]
	v_fma_f64 v[128:129], v[128:129], v[76:77], -v[154:155]
	v_fma_f64 v[16:17], v[16:17], v[84:85], v[118:119]
	v_fma_f64 v[118:119], v[136:137], v[92:93], -v[140:141]
	v_fma_f64 v[22:23], v[22:23], v[96:97], v[156:157]
	v_fma_f64 v[26:27], v[26:27], v[104:105], -v[65:66]
	v_fma_f64 v[28:29], v[28:29], v[108:109], -v[144:145]
	v_fma_f64 v[1:2], v[2:3], v[61:62], v[63:64]
	v_fma_f64 v[6:7], v[6:7], v[72:73], v[74:75]
	;; [unrolled: 1-line block ×6, first 2 shown]
	v_fma_f64 v[61:62], v[124:125], v[84:85], -v[86:87]
	v_add_f64 v[14:15], v[30:31], -v[14:15]
	v_fma_f64 v[38:39], v[44:45], v[96:97], -v[38:39]
	v_fma_f64 v[44:45], v[122:123], v[80:81], -v[82:83]
	v_fma_f64 v[10:11], v[10:11], v[104:105], v[106:107]
	v_add_f64 v[65:66], v[138:139], -v[120:121]
	v_fma_f64 v[24:25], v[46:47], v[100:101], -v[24:25]
	v_fma_f64 v[12:13], v[12:13], v[108:109], v[102:103]
	v_add_f64 v[46:47], v[54:55], -v[98:99]
	s_barrier
	v_add_f64 v[16:17], v[32:33], -v[16:17]
	v_add_f64 v[63:64], v[56:57], -v[118:119]
	;; [unrolled: 1-line block ×5, first 2 shown]
	buffer_gl0_inv
	v_add_f64 v[18:19], v[1:2], -v[18:19]
	v_add_f64 v[20:21], v[3:4], -v[20:21]
	;; [unrolled: 1-line block ×3, first 2 shown]
	v_fma_f64 v[30:31], v[30:31], 2.0, -v[14:15]
	v_add_f64 v[38:39], v[36:37], -v[38:39]
	v_add_f64 v[44:45], v[142:143], -v[44:45]
	v_add_f64 v[10:11], v[6:7], -v[10:11]
	v_fma_f64 v[78:79], v[138:139], 2.0, -v[65:66]
	v_add_f64 v[24:25], v[42:43], -v[24:25]
	v_add_f64 v[12:13], v[8:9], -v[12:13]
	v_add_f64 v[68:69], v[14:15], v[46:47]
	v_fma_f64 v[46:47], v[54:55], 2.0, -v[46:47]
	v_fma_f64 v[32:33], v[32:33], 2.0, -v[16:17]
	v_add_f64 v[72:73], v[16:17], v[63:64]
	v_fma_f64 v[76:77], v[130:131], 2.0, -v[22:23]
	v_add_f64 v[70:71], v[22:23], v[26:27]
	v_add_f64 v[74:75], v[65:66], v[28:29]
	v_fma_f64 v[26:27], v[126:127], 2.0, -v[26:27]
	v_fma_f64 v[28:29], v[128:129], 2.0, -v[28:29]
	;; [unrolled: 1-line block ×5, first 2 shown]
	v_add_f64 v[20:21], v[61:62], -v[20:21]
	v_fma_f64 v[52:53], v[52:53], 2.0, -v[61:62]
	v_fma_f64 v[36:37], v[36:37], 2.0, -v[38:39]
	v_add_f64 v[18:19], v[44:45], -v[18:19]
	v_fma_f64 v[80:81], v[142:143], 2.0, -v[44:45]
	v_fma_f64 v[5:6], v[6:7], 2.0, -v[10:11]
	;; [unrolled: 3-line block ×4, first 2 shown]
	v_fma_f64 v[22:23], v[22:23], 2.0, -v[70:71]
	v_fma_f64 v[65:66], v[65:66], 2.0, -v[74:75]
	v_fma_f64 v[63:64], v[74:75], s[8:9], v[72:73]
	v_add_f64 v[1:2], v[30:31], -v[1:2]
	v_add_f64 v[3:4], v[32:33], -v[3:4]
	v_fma_f64 v[56:57], v[61:62], 2.0, -v[20:21]
	v_fma_f64 v[61:62], v[70:71], s[8:9], v[68:69]
	v_add_f64 v[26:27], v[36:37], -v[26:27]
	v_fma_f64 v[44:45], v[44:45], 2.0, -v[18:19]
	v_add_f64 v[46:47], v[80:81], -v[46:47]
	v_add_f64 v[5:6], v[76:77], -v[5:6]
	v_fma_f64 v[38:39], v[38:39], 2.0, -v[10:11]
	v_add_f64 v[28:29], v[42:43], -v[28:29]
	;; [unrolled: 3-line block ×3, first 2 shown]
	v_fma_f64 v[86:87], v[10:11], s[8:9], v[18:19]
	v_fma_f64 v[88:89], v[12:13], s[8:9], v[20:21]
	;; [unrolled: 1-line block ×4, first 2 shown]
	v_fma_f64 v[30:31], v[30:31], 2.0, -v[1:2]
	v_fma_f64 v[32:33], v[32:33], 2.0, -v[3:4]
	v_fma_f64 v[9:10], v[10:11], s[8:9], v[61:62]
	v_add_f64 v[92:93], v[1:2], v[26:27]
	v_fma_f64 v[11:12], v[12:13], s[8:9], v[63:64]
	v_fma_f64 v[26:27], v[36:37], 2.0, -v[26:27]
	v_fma_f64 v[76:77], v[76:77], 2.0, -v[5:6]
	v_fma_f64 v[90:91], v[38:39], s[6:7], v[44:45]
	v_add_f64 v[94:95], v[3:4], v[28:29]
	v_fma_f64 v[61:62], v[78:79], 2.0, -v[7:8]
	v_fma_f64 v[78:79], v[24:25], s[6:7], v[56:57]
	v_fma_f64 v[36:37], v[52:53], 2.0, -v[54:55]
	v_fma_f64 v[28:29], v[42:43], 2.0, -v[28:29]
	v_add_f64 v[5:6], v[46:47], -v[5:6]
	v_fma_f64 v[42:43], v[70:71], s[6:7], v[86:87]
	v_fma_f64 v[38:39], v[38:39], s[8:9], v[82:83]
	;; [unrolled: 1-line block ×3, first 2 shown]
	v_add_f64 v[7:8], v[54:55], -v[7:8]
	v_fma_f64 v[52:53], v[74:75], s[6:7], v[88:89]
	v_fma_f64 v[63:64], v[80:81], 2.0, -v[46:47]
	v_fma_f64 v[68:69], v[68:69], 2.0, -v[9:10]
	v_fma_f64 v[1:2], v[1:2], 2.0, -v[92:93]
	v_fma_f64 v[72:73], v[72:73], 2.0, -v[11:12]
	v_add_f64 v[70:71], v[30:31], -v[76:77]
	v_fma_f64 v[22:23], v[22:23], s[6:7], v[90:91]
	v_fma_f64 v[3:4], v[3:4], 2.0, -v[94:95]
	v_add_f64 v[61:62], v[32:33], -v[61:62]
	v_fma_f64 v[65:66], v[65:66], s[6:7], v[78:79]
	v_fma_f64 v[74:75], v[94:95], s[8:9], v[92:93]
	v_add_f64 v[28:29], v[36:37], -v[28:29]
	v_fma_f64 v[46:47], v[46:47], 2.0, -v[5:6]
	v_fma_f64 v[76:77], v[11:12], s[18:19], v[9:10]
	v_fma_f64 v[13:14], v[14:15], 2.0, -v[38:39]
	v_fma_f64 v[15:16], v[16:17], 2.0, -v[24:25]
	v_cndmask_b32_e64 v17, 0, 0x3c0, s0
	s_mov_b32 s0, s16
	v_fma_f64 v[54:55], v[54:55], 2.0, -v[7:8]
	v_fma_f64 v[82:83], v[24:25], s[16:17], v[38:39]
	v_add_f64 v[26:27], v[63:64], -v[26:27]
	v_or_b32_e32 v0, v17, v0
	v_fma_f64 v[17:18], v[18:19], 2.0, -v[42:43]
	v_fma_f64 v[19:20], v[20:21], 2.0, -v[52:53]
	v_fma_f64 v[86:87], v[7:8], s[8:9], v[5:6]
	v_fma_f64 v[80:81], v[72:73], s[0:1], v[68:69]
	;; [unrolled: 1-line block ×3, first 2 shown]
	v_fma_f64 v[30:31], v[30:31], 2.0, -v[70:71]
	v_fma_f64 v[44:45], v[44:45], 2.0, -v[22:23]
	v_fma_f64 v[78:79], v[3:4], s[6:7], v[1:2]
	v_fma_f64 v[32:33], v[32:33], 2.0, -v[61:62]
	v_fma_f64 v[56:57], v[56:57], 2.0, -v[65:66]
	v_fma_f64 v[98:99], v[65:66], s[16:17], v[22:23]
	v_fma_f64 v[36:37], v[36:37], 2.0, -v[28:29]
	v_fma_f64 v[7:8], v[7:8], s[8:9], v[74:75]
	v_fma_f64 v[52:53], v[52:53], s[16:17], v[76:77]
	v_add_f64 v[28:29], v[70:71], v[28:29]
	v_fma_f64 v[84:85], v[15:16], s[14:15], v[13:14]
	v_lshlrev_b32_e32 v0, 3, v0
	v_fma_f64 v[90:91], v[54:55], s[6:7], v[46:47]
	v_fma_f64 v[65:66], v[65:66], s[18:19], v[82:83]
	v_fma_f64 v[63:64], v[63:64], 2.0, -v[26:27]
	v_add3_u32 v49, 0, v0, v115
	v_add_f64 v[61:62], v[26:27], -v[61:62]
	v_fma_f64 v[96:97], v[19:20], s[0:1], v[17:18]
	v_fma_f64 v[76:77], v[94:95], s[6:7], v[86:87]
	;; [unrolled: 1-line block ×3, first 2 shown]
	v_add_nc_u32_e32 v100, 0x800, v49
	v_add_nc_u32_e32 v58, 0x400, v49
	;; [unrolled: 1-line block ×3, first 2 shown]
	v_fma_f64 v[54:55], v[54:55], s[8:9], v[78:79]
	v_add_f64 v[32:33], v[30:31], -v[32:33]
	v_fma_f64 v[74:75], v[56:57], s[14:15], v[44:45]
	v_fma_f64 v[78:79], v[11:12], s[0:1], v[88:89]
	;; [unrolled: 1-line block ×3, first 2 shown]
	v_add_nc_u32_e32 v88, 0x1800, v49
	v_fma_f64 v[9:10], v[9:10], 2.0, -v[52:53]
	v_fma_f64 v[11:12], v[70:71], 2.0, -v[28:29]
	v_fma_f64 v[56:57], v[56:57], s[16:17], v[84:85]
	v_add_nc_u32_e32 v101, 0xc00, v49
	v_add_nc_u32_e32 v87, 0x1400, v49
	v_fma_f64 v[80:81], v[3:4], s[6:7], v[90:91]
	v_fma_f64 v[3:4], v[92:93], 2.0, -v[7:8]
	v_fma_f64 v[24:25], v[38:39], 2.0, -v[65:66]
	v_add_f64 v[36:37], v[63:64], -v[36:37]
	v_fma_f64 v[38:39], v[26:27], 2.0, -v[61:62]
	v_fma_f64 v[72:73], v[72:73], s[14:15], v[96:97]
	ds_write2_b64 v88, v[7:8], v[52:53] offset0:72 offset1:132
	ds_write2_b64 v100, v[3:4], v[9:10] offset0:104 offset1:164
	;; [unrolled: 1-line block ×4, first 2 shown]
	v_fma_f64 v[70:71], v[15:16], s[0:1], v[74:75]
	v_fma_f64 v[0:1], v[1:2], 2.0, -v[54:55]
	v_fma_f64 v[15:16], v[68:69], 2.0, -v[19:20]
	;; [unrolled: 1-line block ×7, first 2 shown]
	ds_write2_b64 v49, v[0:1], v[15:16] offset0:120 offset1:180
	ds_write2_b64 v58, v[11:12], v[24:25] offset0:112 offset1:172
	;; [unrolled: 1-line block ×3, first 2 shown]
	ds_write2_b64 v49, v[30:31], v[13:14] offset1:60
	s_waitcnt lgkmcnt(0)
	s_barrier
	buffer_gl0_inv
	ds_read2_b64 v[16:19], v40 offset0:64 offset1:184
	ds_read_b64 v[54:55], v133
	ds_read_b64 v[52:53], v132 offset:960
	ds_read2_b64 v[8:11], v41 offset0:112 offset1:232
	ds_read2_b64 v[20:23], v51 offset0:48 offset1:168
	;; [unrolled: 1-line block ×6, first 2 shown]
	v_fma_f64 v[63:64], v[63:64], 2.0, -v[36:37]
	v_fma_f64 v[28:29], v[44:45], 2.0, -v[70:71]
	;; [unrolled: 1-line block ×4, first 2 shown]
	s_waitcnt lgkmcnt(0)
	s_barrier
	buffer_gl0_inv
	ds_write2_b64 v49, v[63:64], v[28:29] offset1:60
	ds_write2_b64 v49, v[46:47], v[74:75] offset0:120 offset1:180
	ds_write2_b64 v58, v[38:39], v[84:85] offset0:112 offset1:172
	;; [unrolled: 1-line block ×7, first 2 shown]
	s_waitcnt lgkmcnt(0)
	s_barrier
	buffer_gl0_inv
	s_and_saveexec_b32 s0, vcc_lo
	s_cbranch_execz .LBB0_29
; %bb.28:
	v_add_nc_u32_e32 v49, 0x348, v114
	v_add_nc_u32_e32 v34, 0x2d0, v114
	v_mov_b32_e32 v35, v50
	v_add_nc_u32_e32 v32, 0x258, v114
	v_mov_b32_e32 v33, v50
	v_lshlrev_b64 v[30:31], 4, v[49:50]
	v_add_nc_u32_e32 v29, 0x1e0, v114
	v_add_nc_u32_e32 v28, 0x168, v114
	v_mov_b32_e32 v115, v50
	v_mov_b32_e32 v49, v50
	v_mul_hi_u32 v94, 0x88888889, v114
	v_add_co_u32 v36, vcc_lo, s12, v30
	v_add_co_ci_u32_e32 v37, vcc_lo, s13, v31, vcc_lo
	v_lshlrev_b64 v[30:31], 4, v[34:35]
	v_add_co_u32 v34, vcc_lo, 0x3800, v36
	v_add_co_ci_u32_e32 v35, vcc_lo, 0, v37, vcc_lo
	v_lshlrev_b64 v[60:61], 4, v[114:115]
	;; [unrolled: 3-line block ×3, first 2 shown]
	v_add_co_u32 v36, vcc_lo, 0x3800, v30
	v_mov_b32_e32 v30, v50
	v_add_co_ci_u32_e32 v37, vcc_lo, 0, v37, vcc_lo
	v_add_co_u32 v33, vcc_lo, s12, v31
	v_add_co_ci_u32_e32 v38, vcc_lo, s13, v32, vcc_lo
	v_lshlrev_b64 v[30:31], 4, v[29:30]
	v_add_co_u32 v32, vcc_lo, 0x3800, v33
	v_mov_b32_e32 v29, v50
	v_add_co_ci_u32_e32 v33, vcc_lo, 0, v38, vcc_lo
	v_add_co_u32 v30, vcc_lo, s12, v30
	v_add_co_ci_u32_e32 v31, vcc_lo, s13, v31, vcc_lo
	v_lshlrev_b64 v[28:29], 4, v[28:29]
	v_add_co_u32 v38, vcc_lo, 0x3800, v30
	v_add_co_ci_u32_e32 v39, vcc_lo, 0, v31, vcc_lo
	s_clause 0x1
	global_load_dwordx4 v[44:47], v[34:35], off offset:864
	global_load_dwordx4 v[40:43], v[36:37], off offset:864
	v_add_co_u32 v28, vcc_lo, s12, v28
	v_add_co_ci_u32_e32 v29, vcc_lo, s13, v29, vcc_lo
	v_lshlrev_b64 v[48:49], 4, v[48:49]
	v_add_co_u32 v56, vcc_lo, 0x3800, v28
	v_add_co_ci_u32_e32 v57, vcc_lo, 0, v29, vcc_lo
	s_clause 0x2
	global_load_dwordx4 v[28:31], v[32:33], off offset:864
	global_load_dwordx4 v[32:35], v[38:39], off offset:864
	;; [unrolled: 1-line block ×3, first 2 shown]
	v_add_co_u32 v56, vcc_lo, s12, v60
	v_add_co_ci_u32_e32 v57, vcc_lo, s13, v61, vcc_lo
	v_mul_lo_u32 v92, s5, v116
	v_add_co_u32 v50, vcc_lo, 0x4000, v56
	v_add_co_ci_u32_e32 v51, vcc_lo, 0, v57, vcc_lo
	v_add_co_u32 v58, vcc_lo, s12, v48
	v_add_co_ci_u32_e32 v60, vcc_lo, s13, v49, vcc_lo
	;; [unrolled: 2-line block ×4, first 2 shown]
	s_clause 0x2
	global_load_dwordx4 v[48:51], v[50:51], off offset:736
	global_load_dwordx4 v[60:63], v[56:57], off offset:864
	;; [unrolled: 1-line block ×3, first 2 shown]
	v_mul_lo_u32 v93, s4, v117
	v_mad_u64_u32 v[88:89], null, s4, v116, 0
	v_add_nc_u32_e32 v95, 0x78, v114
	v_add_nc_u32_e32 v98, 0xf0, v114
	;; [unrolled: 1-line block ×7, first 2 shown]
	v_mul_hi_u32 v96, 0x88888889, v95
	v_mul_hi_u32 v97, 0x88888889, v98
	;; [unrolled: 1-line block ×3, first 2 shown]
	v_lshrrev_b32_e32 v94, 9, v94
	v_mul_hi_u32 v105, 0x88888889, v100
	v_add3_u32 v89, v89, v93, v92
	v_mul_hi_u32 v92, 0x88888889, v101
	v_mul_hi_u32 v93, 0x88888889, v102
	;; [unrolled: 1-line block ×3, first 2 shown]
	v_mul_u32_u24_e32 v94, 0x3c0, v94
	v_lshrrev_b32_e32 v107, 9, v96
	v_lshrrev_b32_e32 v108, 9, v97
	;; [unrolled: 1-line block ×5, first 2 shown]
	v_sub_nc_u32_e32 v94, v114, v94
	v_lshrrev_b32_e32 v93, 9, v93
	v_lshlrev_b64 v[88:89], 4, v[88:89]
	v_lshrrev_b32_e32 v106, 9, v106
	v_mul_u32_u24_e32 v109, 0x3c0, v107
	v_mul_u32_u24_e32 v110, 0x3c0, v108
	;; [unrolled: 1-line block ×3, first 2 shown]
	v_lshlrev_b64 v[90:91], 4, v[112:113]
	v_mul_u32_u24_e32 v112, 0x3c0, v105
	v_mul_u32_u24_e32 v113, 0x3c0, v92
	v_mad_u64_u32 v[96:97], null, s2, v94, 0
	v_mul_u32_u24_e32 v114, 0x3c0, v93
	v_add_nc_u32_e32 v128, 0x3c0, v94
	v_mul_u32_u24_e32 v115, 0x3c0, v106
	v_sub_nc_u32_e32 v95, v95, v109
	v_sub_nc_u32_e32 v109, v98, v110
	v_add_co_u32 v88, vcc_lo, s10, v88
	v_sub_nc_u32_e32 v110, v99, v111
	v_sub_nc_u32_e32 v100, v100, v112
	;; [unrolled: 1-line block ×4, first 2 shown]
	v_mad_u64_u32 v[98:99], null, s2, v128, 0
	v_add_co_ci_u32_e32 v89, vcc_lo, s11, v89, vcc_lo
	v_sub_nc_u32_e32 v103, v103, v115
	v_mad_u32_u24 v129, 0x780, v107, v95
	v_mad_u32_u24 v130, 0x780, v108, v109
	v_add_co_u32 v144, vcc_lo, v88, v90
	v_mad_u32_u24 v131, 0x780, v104, v110
	v_mov_b32_e32 v88, v97
	v_add_nc_u32_e32 v68, 0x1400, v59
	v_add_nc_u32_e32 v72, 0x3400, v59
	;; [unrolled: 1-line block ×7, first 2 shown]
	ds_read_b64 v[56:57], v132 offset:960
	ds_read_b64 v[58:59], v133
	v_mad_u32_u24 v132, 0x780, v105, v100
	v_mad_u32_u24 v133, 0x780, v92, v101
	;; [unrolled: 1-line block ×4, first 2 shown]
	v_mad_u64_u32 v[100:101], null, s2, v129, 0
	v_mad_u64_u32 v[102:103], null, s2, v130, 0
	v_add_co_ci_u32_e32 v145, vcc_lo, v89, v91, vcc_lo
	v_mad_u64_u32 v[104:105], null, s2, v131, 0
	v_mad_u64_u32 v[88:89], null, s3, v94, v[88:89]
	v_add_nc_u32_e32 v136, 0x3c0, v129
	v_mad_u64_u32 v[106:107], null, s2, v132, 0
	v_add_nc_u32_e32 v140, 0x3c0, v133
	v_mov_b32_e32 v89, v99
	v_add_nc_u32_e32 v137, 0x3c0, v130
	v_add_nc_u32_e32 v138, 0x3c0, v131
	v_mad_u64_u32 v[108:109], null, s2, v133, 0
	v_add_nc_u32_e32 v139, 0x3c0, v132
	v_mad_u64_u32 v[110:111], null, s2, v134, 0
	;; [unrolled: 2-line block ×4, first 2 shown]
	v_mad_u64_u32 v[122:123], null, s2, v140, 0
	v_mad_u64_u32 v[89:90], null, s3, v128, v[89:90]
	;; [unrolled: 1-line block ×4, first 2 shown]
	v_mov_b32_e32 v90, v101
	v_mov_b32_e32 v91, v103
	v_mad_u64_u32 v[120:121], null, s2, v139, 0
	v_mov_b32_e32 v92, v105
	v_mad_u64_u32 v[126:127], null, s2, v146, 0
	v_mov_b32_e32 v93, v107
	ds_read2_b64 v[68:71], v68 offset0:80 offset1:200
	ds_read2_b64 v[72:75], v72 offset0:16 offset1:136
	;; [unrolled: 1-line block ×5, first 2 shown]
	v_mov_b32_e32 v94, v109
	v_mad_u64_u32 v[124:125], null, s2, v141, 0
	v_mov_b32_e32 v95, v111
	v_mad_u64_u32 v[128:129], null, s3, v129, v[90:91]
	;; [unrolled: 2-line block ×3, first 2 shown]
	v_mov_b32_e32 v97, v88
	v_mov_b32_e32 v88, v115
	v_mad_u64_u32 v[130:131], null, s3, v131, v[92:93]
	v_mov_b32_e32 v99, v89
	v_mov_b32_e32 v89, v123
	;; [unrolled: 1-line block ×3, first 2 shown]
	v_mad_u64_u32 v[131:132], null, s3, v132, v[93:94]
	v_mov_b32_e32 v91, v119
	v_mad_u64_u32 v[132:133], null, s3, v133, v[94:95]
	v_mov_b32_e32 v92, v121
	;; [unrolled: 2-line block ×3, first 2 shown]
	v_mad_u64_u32 v[134:135], null, s3, v135, v[101:102]
	v_mad_u64_u32 v[135:136], null, s3, v136, v[88:89]
	v_mov_b32_e32 v88, v125
	v_mad_u64_u32 v[136:137], null, s3, v137, v[90:91]
	v_mad_u64_u32 v[137:138], null, s3, v138, v[91:92]
	;; [unrolled: 1-line block ×5, first 2 shown]
	ds_read2_b64 v[88:91], v142 offset0:48 offset1:168
	v_mad_u64_u32 v[141:142], null, s3, v146, v[93:94]
	ds_read2_b64 v[92:95], v143 offset0:64 offset1:184
	v_mov_b32_e32 v101, v128
	v_mov_b32_e32 v103, v129
	v_lshlrev_b64 v[96:97], 4, v[96:97]
	v_lshlrev_b64 v[98:99], 4, v[98:99]
	v_mov_b32_e32 v105, v130
	v_mov_b32_e32 v107, v131
	v_lshlrev_b64 v[100:101], 4, v[100:101]
	v_lshlrev_b64 v[102:103], 4, v[102:103]
	v_add_co_u32 v96, vcc_lo, v144, v96
	v_add_co_ci_u32_e32 v97, vcc_lo, v145, v97, vcc_lo
	v_add_co_u32 v98, vcc_lo, v144, v98
	v_add_co_ci_u32_e32 v99, vcc_lo, v145, v99, vcc_lo
	v_lshlrev_b64 v[104:105], 4, v[104:105]
	v_add_co_u32 v100, vcc_lo, v144, v100
	v_mov_b32_e32 v109, v132
	v_mov_b32_e32 v125, v140
	;; [unrolled: 1-line block ×3, first 2 shown]
	v_add_co_ci_u32_e32 v101, vcc_lo, v145, v101, vcc_lo
	v_lshlrev_b64 v[106:107], 4, v[106:107]
	v_mov_b32_e32 v121, v138
	v_mov_b32_e32 v123, v139
	v_add_co_u32 v102, vcc_lo, v144, v102
	v_mov_b32_e32 v111, v133
	v_add_co_ci_u32_e32 v103, vcc_lo, v145, v103, vcc_lo
	v_lshlrev_b64 v[108:109], 4, v[108:109]
	v_add_co_u32 v104, vcc_lo, v144, v104
	v_mov_b32_e32 v113, v134
	v_mov_b32_e32 v117, v136
	;; [unrolled: 1-line block ×3, first 2 shown]
	v_add_co_ci_u32_e32 v105, vcc_lo, v145, v105, vcc_lo
	v_mov_b32_e32 v115, v135
	v_lshlrev_b64 v[110:111], 4, v[110:111]
	v_add_co_u32 v106, vcc_lo, v144, v106
	v_add_co_ci_u32_e32 v107, vcc_lo, v145, v107, vcc_lo
	v_lshlrev_b64 v[112:113], 4, v[112:113]
	v_add_co_u32 v108, vcc_lo, v144, v108
	v_add_co_ci_u32_e32 v109, vcc_lo, v145, v109, vcc_lo
	v_lshlrev_b64 v[114:115], 4, v[114:115]
	v_lshlrev_b64 v[116:117], 4, v[116:117]
	;; [unrolled: 1-line block ×7, first 2 shown]
	s_waitcnt vmcnt(7)
	v_mul_f64 v[128:129], v[26:27], v[46:47]
	s_waitcnt lgkmcnt(5)
	v_mul_f64 v[46:47], v[74:75], v[46:47]
	s_waitcnt vmcnt(6)
	v_mul_f64 v[130:131], v[24:25], v[42:43]
	v_mul_f64 v[42:43], v[72:73], v[42:43]
	s_waitcnt vmcnt(5)
	v_mul_f64 v[132:133], v[14:15], v[30:31]
	s_waitcnt vmcnt(4)
	;; [unrolled: 2-line block ×3, first 2 shown]
	v_mul_f64 v[136:137], v[22:23], v[38:39]
	s_waitcnt lgkmcnt(1)
	v_mul_f64 v[38:39], v[90:91], v[38:39]
	v_mul_f64 v[34:35], v[80:81], v[34:35]
	;; [unrolled: 1-line block ×3, first 2 shown]
	v_fma_f64 v[74:75], v[74:75], v[44:45], -v[128:129]
	v_fma_f64 v[26:27], v[26:27], v[44:45], v[46:47]
	s_waitcnt vmcnt(2)
	v_mul_f64 v[138:139], v[18:19], v[50:51]
	s_waitcnt vmcnt(1)
	v_mul_f64 v[140:141], v[16:17], v[62:63]
	s_waitcnt lgkmcnt(0)
	v_mul_f64 v[62:63], v[92:93], v[62:63]
	v_mul_f64 v[50:51], v[94:95], v[50:51]
	s_waitcnt vmcnt(0)
	v_mul_f64 v[44:45], v[20:21], v[66:67]
	v_mul_f64 v[46:47], v[88:89], v[66:67]
	v_fma_f64 v[66:67], v[72:73], v[40:41], -v[130:131]
	v_add_co_u32 v72, vcc_lo, v144, v110
	v_add_co_ci_u32_e32 v73, vcc_lo, v145, v111, vcc_lo
	v_add_co_u32 v110, vcc_lo, v144, v112
	v_add_co_ci_u32_e32 v111, vcc_lo, v145, v113, vcc_lo
	;; [unrolled: 2-line block ×3, first 2 shown]
	v_fma_f64 v[114:115], v[24:25], v[40:41], v[42:43]
	v_fma_f64 v[40:41], v[82:83], v[28:29], -v[132:133]
	v_fma_f64 v[42:43], v[94:95], v[48:49], -v[138:139]
	;; [unrolled: 1-line block ×3, first 2 shown]
	v_fma_f64 v[16:17], v[16:17], v[60:61], v[62:63]
	v_fma_f64 v[48:49], v[18:19], v[48:49], v[50:51]
	v_fma_f64 v[44:45], v[88:89], v[64:65], -v[44:45]
	v_fma_f64 v[46:47], v[20:21], v[64:65], v[46:47]
	v_fma_f64 v[50:51], v[90:91], v[36:37], -v[136:137]
	;; [unrolled: 2-line block ×3, first 2 shown]
	v_fma_f64 v[60:61], v[12:13], v[32:33], v[34:35]
	v_fma_f64 v[62:63], v[14:15], v[28:29], v[30:31]
	v_add_f64 v[12:13], v[2:3], -v[26:27]
	v_add_f64 v[18:19], v[68:69], -v[66:67]
	;; [unrolled: 1-line block ×3, first 2 shown]
	v_add_co_u32 v80, vcc_lo, v144, v116
	v_add_co_ci_u32_e32 v81, vcc_lo, v145, v117, vcc_lo
	v_add_co_u32 v82, vcc_lo, v144, v118
	v_add_co_ci_u32_e32 v83, vcc_lo, v145, v119, vcc_lo
	v_add_f64 v[26:27], v[56:57], -v[42:43]
	v_add_f64 v[22:23], v[58:59], -v[24:25]
	v_add_f64 v[20:21], v[54:55], -v[16:17]
	v_add_f64 v[24:25], v[52:53], -v[48:49]
	v_add_f64 v[30:31], v[84:85], -v[44:45]
	v_add_f64 v[28:29], v[8:9], -v[46:47]
	v_add_f64 v[34:35], v[86:87], -v[50:51]
	v_add_f64 v[32:33], v[10:11], -v[36:37]
	v_add_f64 v[38:39], v[76:77], -v[38:39]
	v_add_f64 v[36:37], v[4:5], -v[60:61]
	v_add_f64 v[42:43], v[78:79], -v[40:41]
	v_add_f64 v[40:41], v[6:7], -v[62:63]
	v_add_f64 v[16:17], v[0:1], -v[114:115]
	v_add_co_u32 v74, vcc_lo, v144, v120
	v_add_co_ci_u32_e32 v75, vcc_lo, v145, v121, vcc_lo
	v_add_co_u32 v88, vcc_lo, v144, v122
	v_fma_f64 v[46:47], v[70:71], 2.0, -v[14:15]
	v_fma_f64 v[44:45], v[2:3], 2.0, -v[12:13]
	v_add_co_ci_u32_e32 v89, vcc_lo, v145, v123, vcc_lo
	v_fma_f64 v[50:51], v[58:59], 2.0, -v[22:23]
	v_fma_f64 v[48:49], v[54:55], 2.0, -v[20:21]
	;; [unrolled: 1-line block ×14, first 2 shown]
	v_add_co_u32 v0, vcc_lo, v144, v124
	v_add_co_ci_u32_e32 v1, vcc_lo, v145, v125, vcc_lo
	v_add_co_u32 v2, vcc_lo, v144, v126
	v_add_co_ci_u32_e32 v3, vcc_lo, v145, v127, vcc_lo
	global_store_dwordx4 v[96:97], v[48:51], off
	global_store_dwordx4 v[98:99], v[20:23], off
	;; [unrolled: 1-line block ×16, first 2 shown]
.LBB0_29:
	s_endpgm
	.section	.rodata,"a",@progbits
	.p2align	6, 0x0
	.amdhsa_kernel fft_rtc_back_len1920_factors_10_6_16_2_wgs_240_tpt_120_halfLds_dp_op_CI_CI_sbrr_dirReg
		.amdhsa_group_segment_fixed_size 0
		.amdhsa_private_segment_fixed_size 0
		.amdhsa_kernarg_size 104
		.amdhsa_user_sgpr_count 6
		.amdhsa_user_sgpr_private_segment_buffer 1
		.amdhsa_user_sgpr_dispatch_ptr 0
		.amdhsa_user_sgpr_queue_ptr 0
		.amdhsa_user_sgpr_kernarg_segment_ptr 1
		.amdhsa_user_sgpr_dispatch_id 0
		.amdhsa_user_sgpr_flat_scratch_init 0
		.amdhsa_user_sgpr_private_segment_size 0
		.amdhsa_wavefront_size32 1
		.amdhsa_uses_dynamic_stack 0
		.amdhsa_system_sgpr_private_segment_wavefront_offset 0
		.amdhsa_system_sgpr_workgroup_id_x 1
		.amdhsa_system_sgpr_workgroup_id_y 0
		.amdhsa_system_sgpr_workgroup_id_z 0
		.amdhsa_system_sgpr_workgroup_info 0
		.amdhsa_system_vgpr_workitem_id 0
		.amdhsa_next_free_vgpr 160
		.amdhsa_next_free_sgpr 31
		.amdhsa_reserve_vcc 1
		.amdhsa_reserve_flat_scratch 0
		.amdhsa_float_round_mode_32 0
		.amdhsa_float_round_mode_16_64 0
		.amdhsa_float_denorm_mode_32 3
		.amdhsa_float_denorm_mode_16_64 3
		.amdhsa_dx10_clamp 1
		.amdhsa_ieee_mode 1
		.amdhsa_fp16_overflow 0
		.amdhsa_workgroup_processor_mode 1
		.amdhsa_memory_ordered 1
		.amdhsa_forward_progress 0
		.amdhsa_shared_vgpr_count 0
		.amdhsa_exception_fp_ieee_invalid_op 0
		.amdhsa_exception_fp_denorm_src 0
		.amdhsa_exception_fp_ieee_div_zero 0
		.amdhsa_exception_fp_ieee_overflow 0
		.amdhsa_exception_fp_ieee_underflow 0
		.amdhsa_exception_fp_ieee_inexact 0
		.amdhsa_exception_int_div_zero 0
	.end_amdhsa_kernel
	.text
.Lfunc_end0:
	.size	fft_rtc_back_len1920_factors_10_6_16_2_wgs_240_tpt_120_halfLds_dp_op_CI_CI_sbrr_dirReg, .Lfunc_end0-fft_rtc_back_len1920_factors_10_6_16_2_wgs_240_tpt_120_halfLds_dp_op_CI_CI_sbrr_dirReg
                                        ; -- End function
	.section	.AMDGPU.csdata,"",@progbits
; Kernel info:
; codeLenInByte = 13116
; NumSgprs: 33
; NumVgprs: 160
; ScratchSize: 0
; MemoryBound: 1
; FloatMode: 240
; IeeeMode: 1
; LDSByteSize: 0 bytes/workgroup (compile time only)
; SGPRBlocks: 4
; VGPRBlocks: 19
; NumSGPRsForWavesPerEU: 33
; NumVGPRsForWavesPerEU: 160
; Occupancy: 6
; WaveLimiterHint : 1
; COMPUTE_PGM_RSRC2:SCRATCH_EN: 0
; COMPUTE_PGM_RSRC2:USER_SGPR: 6
; COMPUTE_PGM_RSRC2:TRAP_HANDLER: 0
; COMPUTE_PGM_RSRC2:TGID_X_EN: 1
; COMPUTE_PGM_RSRC2:TGID_Y_EN: 0
; COMPUTE_PGM_RSRC2:TGID_Z_EN: 0
; COMPUTE_PGM_RSRC2:TIDIG_COMP_CNT: 0
	.text
	.p2alignl 6, 3214868480
	.fill 48, 4, 3214868480
	.type	__hip_cuid_992ed56f035a40b6,@object ; @__hip_cuid_992ed56f035a40b6
	.section	.bss,"aw",@nobits
	.globl	__hip_cuid_992ed56f035a40b6
__hip_cuid_992ed56f035a40b6:
	.byte	0                               ; 0x0
	.size	__hip_cuid_992ed56f035a40b6, 1

	.ident	"AMD clang version 19.0.0git (https://github.com/RadeonOpenCompute/llvm-project roc-6.4.0 25133 c7fe45cf4b819c5991fe208aaa96edf142730f1d)"
	.section	".note.GNU-stack","",@progbits
	.addrsig
	.addrsig_sym __hip_cuid_992ed56f035a40b6
	.amdgpu_metadata
---
amdhsa.kernels:
  - .args:
      - .actual_access:  read_only
        .address_space:  global
        .offset:         0
        .size:           8
        .value_kind:     global_buffer
      - .offset:         8
        .size:           8
        .value_kind:     by_value
      - .actual_access:  read_only
        .address_space:  global
        .offset:         16
        .size:           8
        .value_kind:     global_buffer
      - .actual_access:  read_only
        .address_space:  global
        .offset:         24
        .size:           8
        .value_kind:     global_buffer
      - .actual_access:  read_only
        .address_space:  global
        .offset:         32
        .size:           8
        .value_kind:     global_buffer
      - .offset:         40
        .size:           8
        .value_kind:     by_value
      - .actual_access:  read_only
        .address_space:  global
        .offset:         48
        .size:           8
        .value_kind:     global_buffer
      - .actual_access:  read_only
        .address_space:  global
        .offset:         56
        .size:           8
        .value_kind:     global_buffer
      - .offset:         64
        .size:           4
        .value_kind:     by_value
      - .actual_access:  read_only
        .address_space:  global
        .offset:         72
        .size:           8
        .value_kind:     global_buffer
      - .actual_access:  read_only
        .address_space:  global
        .offset:         80
        .size:           8
        .value_kind:     global_buffer
      - .actual_access:  read_only
        .address_space:  global
        .offset:         88
        .size:           8
        .value_kind:     global_buffer
      - .actual_access:  write_only
        .address_space:  global
        .offset:         96
        .size:           8
        .value_kind:     global_buffer
    .group_segment_fixed_size: 0
    .kernarg_segment_align: 8
    .kernarg_segment_size: 104
    .language:       OpenCL C
    .language_version:
      - 2
      - 0
    .max_flat_workgroup_size: 240
    .name:           fft_rtc_back_len1920_factors_10_6_16_2_wgs_240_tpt_120_halfLds_dp_op_CI_CI_sbrr_dirReg
    .private_segment_fixed_size: 0
    .sgpr_count:     33
    .sgpr_spill_count: 0
    .symbol:         fft_rtc_back_len1920_factors_10_6_16_2_wgs_240_tpt_120_halfLds_dp_op_CI_CI_sbrr_dirReg.kd
    .uniform_work_group_size: 1
    .uses_dynamic_stack: false
    .vgpr_count:     160
    .vgpr_spill_count: 0
    .wavefront_size: 32
    .workgroup_processor_mode: 1
amdhsa.target:   amdgcn-amd-amdhsa--gfx1030
amdhsa.version:
  - 1
  - 2
...

	.end_amdgpu_metadata
